;; amdgpu-corpus repo=ROCm/aiter kind=harvested arch=n/a opt=n/a

/root/src/amdgpu-assembly/repos/ROCm__aiter/hsa/gfx942/fmoe_int8_g1u0.co:	file format elf64-amdgpu

Disassembly of section .text:

0000000000002b00 <fmoe_kernel_func>:
	s_and_b32 s1, s1, 0xffff                                   // 000000002B00: 8601FF01 0000FFFF
	s_load_dwordx2 s[8:9], s[0:1], 0x0                         // 000000002B08: C0060200 00000000
	s_load_dwordx2 s[20:21], s[0:1], 0x10                      // 000000002B10: C0060500 00000010
	s_load_dwordx2 s[24:25], s[0:1], 0x20                      // 000000002B18: C0060600 00000020
	s_load_dwordx2 s[50:51], s[0:1], 0x30                      // 000000002B20: C0060C80 00000030
	s_load_dwordx2 s[12:13], s[0:1], 0x40                      // 000000002B28: C0060300 00000040
	s_load_dwordx2 s[28:29], s[0:1], 0x50                      // 000000002B30: C0060700 00000050
	s_load_dwordx2 s[32:33], s[0:1], 0x60                      // 000000002B38: C0060800 00000060
	s_load_dwordx2 s[16:17], s[0:1], 0x70                      // 000000002B40: C0060400 00000070
	s_load_dwordx2 s[36:37], s[0:1], 0x80                      // 000000002B48: C0060900 00000080
	s_load_dwordx2 s[44:45], s[0:1], 0x90                      // 000000002B50: C0060B00 00000090
	s_load_dwordx2 s[40:41], s[0:1], 0xa0                      // 000000002B58: C0060A00 000000A0
	s_load_dwordx2 s[46:47], s[0:1], 0xb0                      // 000000002B60: C0060B80 000000B0
	s_load_dword s64, s[0:1], 0xc0                             // 000000002B68: C0021000 000000C0
	s_load_dword s65, s[0:1], 0xd0                             // 000000002B70: C0021040 000000D0
	s_load_dword s66, s[0:1], 0xe0                             // 000000002B78: C0021080 000000E0
	s_load_dword s67, s[0:1], 0xf0                             // 000000002B80: C00210C0 000000F0
	s_load_dword s68, s[0:1], 0x100                            // 000000002B88: C0021100 00000100
	s_load_dword s69, s[0:1], 0x110                            // 000000002B90: C0021140 00000110
	s_load_dword s70, s[0:1], 0x120                            // 000000002B98: C0021180 00000120
	s_load_dword s71, s[0:1], 0x130                            // 000000002BA0: C00211C0 00000130
	s_load_dword s72, s[0:1], 0x140                            // 000000002BA8: C0021200 00000140
	s_load_dword s73, s[0:1], 0x150                            // 000000002BB0: C0021240 00000150
	s_load_dword s74, s[0:1], 0x160                            // 000000002BB8: C0021280 00000160
	s_load_dword s75, s[0:1], 0x170                            // 000000002BC0: C00212C0 00000170
	s_load_dword s76, s[0:1], 0x180                            // 000000002BC8: C0021300 00000180
	s_load_dword s63, s[0:1], 0x190                            // 000000002BD0: C0020FC0 00000190
	v_lshrrev_b32_e32 v1, 10, v0                               // 000000002BD8: 2002008A
	v_lshrrev_b32_e32 v2, 10, v1                               // 000000002BDC: 2004028A
	v_and_b32_e32 v2, 0x3ff, v2                                // 000000002BE0: 260404FF 000003FF
	v_and_b32_e32 v1, 0x3ff, v1                                // 000000002BE8: 260202FF 000003FF
	v_and_b32_e32 v0, 0x3ff, v0                                // 000000002BF0: 260000FF 000003FF
	v_lshrrev_b32_e32 v3, 6, v0                                // 000000002BF8: 20060086
	v_and_b32_e32 v0, 63, v0                                   // 000000002BFC: 260000BF
	s_mov_b32 s2, s2                                           // 000000002C00: BE820002
	s_mov_b32 s3, s3                                           // 000000002C04: BE830003
	s_mov_b32 s4, s4                                           // 000000002C08: BE840004
	v_readfirstlane_b32 s5, v3                                 // 000000002C0C: 7E0A0503
	s_waitcnt lgkmcnt(0)                                       // 000000002C10: BF8CC07F
	s_and_b32 s51, s51, 0xffff                                 // 000000002C14: 8633FF33 0000FFFF
	s_load_dword s50, s[50:51], 0x0                            // 000000002C1C: C0020C99 00000000
	s_and_b32 s45, s45, 0xffff                                 // 000000002C24: 862DFF2D 0000FFFF
	s_and_b32 s47, s47, 0xffff                                 // 000000002C2C: 862FFF2F 0000FFFF
	s_and_b32 s9, s9, 0xffff                                   // 000000002C34: 8609FF09 0000FFFF
	s_mul_i32 s60, s66, s68                                    // 000000002C3C: 923C4442
	s_mul_i32 s60, s63, s60                                    // 000000002C40: 923C3C3F
	s_mul_i32 s61, s66, 4                                      // 000000002C44: 923D8442
	s_mul_i32 s61, s63, s61                                    // 000000002C48: 923D3D3F
	s_mov_b32 s22, s60                                         // 000000002C4C: BE96003C
	s_mov_b32 s26, 0x80000000                                  // 000000002C50: BE9A00FF 80000000
	s_mov_b32 s14, 0x80000000                                  // 000000002C58: BE8E00FF 80000000
	s_mov_b32 s42, 0x80000000                                  // 000000002C60: BEAA00FF 80000000
	s_mov_b32 s30, s61                                         // 000000002C68: BE9E003D
	s_mov_b32 s34, 0x80000000                                  // 000000002C6C: BEA200FF 80000000
	s_mov_b32 s38, 0x80000000                                  // 000000002C74: BEA600FF 80000000
	s_mov_b32 s18, 0x80000000                                  // 000000002C7C: BE9200FF 80000000
	s_mov_b32 s23, 0x20000                                     // 000000002C84: BE9700FF 00020000
	s_mov_b32 s27, 0x20000                                     // 000000002C8C: BE9B00FF 00020000
	s_mov_b32 s15, 0x20000                                     // 000000002C94: BE8F00FF 00020000
	s_mov_b32 s43, 0x20000                                     // 000000002C9C: BEAB00FF 00020000
	s_mov_b32 s31, 0x20000                                     // 000000002CA4: BE9F00FF 00020000
	s_mov_b32 s35, 0x20000                                     // 000000002CAC: BEA300FF 00020000
	s_mov_b32 s39, 0x20000                                     // 000000002CB4: BEA700FF 00020000
	s_mov_b32 s19, 0x20000                                     // 000000002CBC: BE9300FF 00020000
	s_and_b32 s21, s21, 0xffff                                 // 000000002CC4: 8615FF15 0000FFFF
	s_and_b32 s25, s25, 0xffff                                 // 000000002CCC: 8619FF19 0000FFFF
	s_and_b32 s13, s13, 0xffff                                 // 000000002CD4: 860DFF0D 0000FFFF
	s_and_b32 s41, s41, 0xffff                                 // 000000002CDC: 8629FF29 0000FFFF
	s_and_b32 s29, s29, 0xffff                                 // 000000002CE4: 861DFF1D 0000FFFF
	s_and_b32 s33, s33, 0xffff                                 // 000000002CEC: 8621FF21 0000FFFF
	s_and_b32 s37, s37, 0xffff                                 // 000000002CF4: 8625FF25 0000FFFF
	s_and_b32 s17, s17, 0xffff                                 // 000000002CFC: 8611FF11 0000FFFF
	s_or_b32 s21, s21, 0x40000                                 // 000000002D04: 8715FF15 00040000
	s_or_b32 s25, s25, 0x40000                                 // 000000002D0C: 8719FF19 00040000
	s_or_b32 s13, s13, 0x40000                                 // 000000002D14: 870DFF0D 00040000
	s_or_b32 s41, s41, 0x40000                                 // 000000002D1C: 8729FF29 00040000
	s_or_b32 s29, s29, 0x40000                                 // 000000002D24: 871DFF1D 00040000
	s_or_b32 s33, s33, 0x40000                                 // 000000002D2C: 8721FF21 00040000
	s_or_b32 s37, s37, 0x40000                                 // 000000002D34: 8725FF25 00040000
	s_or_b32 s17, s17, 0x40000                                 // 000000002D3C: 8711FF11 00040000
	v_accvgpr_write_b32 a255, 0                                // 000000002D44: D3D940FF 18000080
	v_mov_b32_e32 v255, 0                                      // 000000002D4C: 7FFE0280
	s_waitcnt lgkmcnt(0)                                       // 000000002D50: BF8CC07F
	s_mul_i32 s60, s3, 32                                      // 000000002D54: 923CA003
	s_cmp_lt_i32 s60, s50                                      // 000000002D58: BF04323C
	s_cbranch_scc0 label_2372                                  // 000000002D5C: BF8422DA
	s_mov_b32 s80, 0                                           // 000000002D60: BED00080
	s_mov_b32 s81, s64                                         // 000000002D64: BED10040
	s_mul_i32 s60, s3, 4                                       // 000000002D68: 923C8403
	s_add_u32 s46, s60, s46                                    // 000000002D6C: 802E2E3C
	s_addc_u32 s47, 0, s47                                     // 000000002D70: 822F2F80
	s_load_dword s77, s[46:47], 0x0                            // 000000002D74: C0021357 00000000
	s_mul_i32 s60, s3, 32                                      // 000000002D7C: 923CA003
	s_mul_i32 s60, 4, s60                                      // 000000002D80: 923C3C84
	v_and_b32_e32 v54, 15, v0                                  // 000000002D84: 266C008F
	v_lshlrev_b32_e32 v54, 2, v54                              // 000000002D88: 246C6C82
	v_add_u32_e32 v54, s60, v54                                // 000000002D8C: 686C6C3C
	v_mov_b32_e32 v55, 0                                       // 000000002D90: 7E6E0280
	global_load_dword v6, v54, s[44:45]                        // 000000002D94: DC508000 062C0036
	v_add_u32_e32 v54, 64, v54                                 // 000000002D9C: 686C6CC0
	global_load_dword v7, v54, s[44:45]                        // 000000002DA0: DC508000 072C0036
	s_mul_i32 s60, s3, 32                                      // 000000002DA8: 923CA003
	s_add_u32 s60, s5, s60                                     // 000000002DAC: 803C3C05
	s_mul_i32 s60, 4, s60                                      // 000000002DB0: 923C3C84
	s_add_u32 s44, s60, s44                                    // 000000002DB4: 802C2C3C
	s_addc_u32 s45, 0, s45                                     // 000000002DB8: 822D2D80
	s_load_dword s84, s[44:45], 0x0                            // 000000002DBC: C0021516 00000000
	s_load_dword s85, s[44:45], 0x10                           // 000000002DC4: C0021556 00000010
	s_load_dword s86, s[44:45], 0x20                           // 000000002DCC: C0021596 00000020
	s_load_dword s87, s[44:45], 0x30                           // 000000002DD4: C00215D6 00000030
	s_load_dword s88, s[44:45], 0x40                           // 000000002DDC: C0021616 00000040
	s_load_dword s89, s[44:45], 0x50                           // 000000002DE4: C0021656 00000050
	s_load_dword s90, s[44:45], 0x60                           // 000000002DEC: C0021696 00000060
	s_load_dword s91, s[44:45], 0x70                           // 000000002DF4: C00216D6 00000070
	s_waitcnt lgkmcnt(0)                                       // 000000002DFC: BF8CC07F
	v_lshlrev_b32_e32 v54, 2, v0                               // 000000002E00: 246C0082
	s_lshr_b32 s61, s84, 24                                    // 000000002E04: 8F3D9854
	s_mul_i32 s61, s61, s68                                    // 000000002E08: 923D443D
	s_mul_i32 s61, s61, s66                                    // 000000002E0C: 923D423D
	s_and_b32 s84, s84, 0xffffff                               // 000000002E10: 8654FF54 00FFFFFF
	s_mul_i32 s60, s84, s68                                    // 000000002E18: 923C4454
	s_add_u32 s60, s61, s60                                    // 000000002E1C: 803C3C3D
	v_add_u32_e64 v26, v54, s60                                // 000000002E20: D134001A 00007936
	s_lshr_b32 s61, s85, 24                                    // 000000002E28: 8F3D9855
	s_mul_i32 s61, s61, s68                                    // 000000002E2C: 923D443D
	s_mul_i32 s61, s61, s66                                    // 000000002E30: 923D423D
	s_and_b32 s85, s85, 0xffffff                               // 000000002E34: 8655FF55 00FFFFFF
	s_mul_i32 s60, s85, s68                                    // 000000002E3C: 923C4455
	s_add_u32 s60, s61, s60                                    // 000000002E40: 803C3C3D
	v_add_u32_e64 v27, v54, s60                                // 000000002E44: D134001B 00007936
	s_lshr_b32 s61, s86, 24                                    // 000000002E4C: 8F3D9856
	s_mul_i32 s61, s61, s68                                    // 000000002E50: 923D443D
	s_mul_i32 s61, s61, s66                                    // 000000002E54: 923D423D
	s_and_b32 s86, s86, 0xffffff                               // 000000002E58: 8656FF56 00FFFFFF
	s_mul_i32 s60, s86, s68                                    // 000000002E60: 923C4456
	s_add_u32 s60, s61, s60                                    // 000000002E64: 803C3C3D
	v_add_u32_e64 v28, v54, s60                                // 000000002E68: D134001C 00007936
	s_lshr_b32 s61, s87, 24                                    // 000000002E70: 8F3D9857
	s_mul_i32 s61, s61, s68                                    // 000000002E74: 923D443D
	s_mul_i32 s61, s61, s66                                    // 000000002E78: 923D423D
	s_and_b32 s87, s87, 0xffffff                               // 000000002E7C: 8657FF57 00FFFFFF
	s_mul_i32 s60, s87, s68                                    // 000000002E84: 923C4457
	s_add_u32 s60, s61, s60                                    // 000000002E88: 803C3C3D
	v_add_u32_e64 v29, v54, s60                                // 000000002E8C: D134001D 00007936
	s_lshr_b32 s61, s88, 24                                    // 000000002E94: 8F3D9858
	s_mul_i32 s61, s61, s68                                    // 000000002E98: 923D443D
	s_mul_i32 s61, s61, s66                                    // 000000002E9C: 923D423D
	s_and_b32 s88, s88, 0xffffff                               // 000000002EA0: 8658FF58 00FFFFFF
	s_mul_i32 s60, s88, s68                                    // 000000002EA8: 923C4458
	s_add_u32 s60, s61, s60                                    // 000000002EAC: 803C3C3D
	v_add_u32_e64 v30, v54, s60                                // 000000002EB0: D134001E 00007936
	s_lshr_b32 s61, s89, 24                                    // 000000002EB8: 8F3D9859
	s_mul_i32 s61, s61, s68                                    // 000000002EBC: 923D443D
	s_mul_i32 s61, s61, s66                                    // 000000002EC0: 923D423D
	s_and_b32 s89, s89, 0xffffff                               // 000000002EC4: 8659FF59 00FFFFFF
	s_mul_i32 s60, s89, s68                                    // 000000002ECC: 923C4459
	s_add_u32 s60, s61, s60                                    // 000000002ED0: 803C3C3D
	v_add_u32_e64 v31, v54, s60                                // 000000002ED4: D134001F 00007936
	s_lshr_b32 s61, s90, 24                                    // 000000002EDC: 8F3D985A
	s_mul_i32 s61, s61, s68                                    // 000000002EE0: 923D443D
	s_mul_i32 s61, s61, s66                                    // 000000002EE4: 923D423D
	s_and_b32 s90, s90, 0xffffff                               // 000000002EE8: 865AFF5A 00FFFFFF
	s_mul_i32 s60, s90, s68                                    // 000000002EF0: 923C445A
	s_add_u32 s60, s61, s60                                    // 000000002EF4: 803C3C3D
	v_add_u32_e64 v32, v54, s60                                // 000000002EF8: D1340020 00007936
	s_lshr_b32 s61, s91, 24                                    // 000000002F00: 8F3D985B
	s_mul_i32 s61, s61, s68                                    // 000000002F04: 923D443D
	s_mul_i32 s61, s61, s66                                    // 000000002F08: 923D423D
	s_and_b32 s91, s91, 0xffffff                               // 000000002F0C: 865BFF5B 00FFFFFF
	s_mul_i32 s60, s91, s68                                    // 000000002F14: 923C445B
	s_add_u32 s60, s61, s60                                    // 000000002F18: 803C3C3D
	v_add_u32_e64 v33, v54, s60                                // 000000002F1C: D1340021 00007936
	v_lshlrev_b32_e32 v54, 2, v0                               // 000000002F24: 246C0082
	s_mul_i32 s60, s84, s71                                    // 000000002F28: 923C4754
	v_add_u32_e64 v80, v54, s60                                // 000000002F2C: D1340050 00007936
	v_mov_b32_e32 v81, 0                                       // 000000002F34: 7EA20280
	s_mul_i32 s60, s85, s71                                    // 000000002F38: 923C4755
	v_add_u32_e64 v82, v54, s60                                // 000000002F3C: D1340052 00007936
	v_mov_b32_e32 v83, 0                                       // 000000002F44: 7EA60280
	s_mul_i32 s60, s86, s71                                    // 000000002F48: 923C4756
	v_add_u32_e64 v84, v54, s60                                // 000000002F4C: D1340054 00007936
	v_mov_b32_e32 v85, 0                                       // 000000002F54: 7EAA0280
	s_mul_i32 s60, s87, s71                                    // 000000002F58: 923C4757
	v_add_u32_e64 v86, v54, s60                                // 000000002F5C: D1340056 00007936
	v_mov_b32_e32 v87, 0                                       // 000000002F64: 7EAE0280
	s_mul_i32 s60, s88, s71                                    // 000000002F68: 923C4758
	v_add_u32_e64 v88, v54, s60                                // 000000002F6C: D1340058 00007936
	v_mov_b32_e32 v89, 0                                       // 000000002F74: 7EB20280
	s_mul_i32 s60, s89, s71                                    // 000000002F78: 923C4759
	v_add_u32_e64 v90, v54, s60                                // 000000002F7C: D134005A 00007936
	v_mov_b32_e32 v91, 0                                       // 000000002F84: 7EB60280
	s_mul_i32 s60, s90, s71                                    // 000000002F88: 923C475A
	v_add_u32_e64 v92, v54, s60                                // 000000002F8C: D134005C 00007936
	v_mov_b32_e32 v93, 0                                       // 000000002F94: 7EBA0280
	s_mul_i32 s60, s91, s71                                    // 000000002F98: 923C475B
	v_add_u32_e64 v94, v54, s60                                // 000000002F9C: D134005E 00007936
	v_mov_b32_e32 v95, 0                                       // 000000002FA4: 7EBE0280
	s_mul_i32 s60, s5, 0x820                                   // 000000002FA8: 923CFF05 00000820
	s_add_u32 s50, 0, s60                                      // 000000002FB0: 80323C80
	s_add_u32 s51, 0x2080, s50                                 // 000000002FB4: 803332FF 00002080
	v_lshrrev_b32_e32 v54, 4, v0                               // 000000002FBC: 206C0084
	v_lshlrev_b32_e32 v55, 2, v54                              // 000000002FC0: 246E6C82
	v_and_b32_e32 v54, 15, v0                                  // 000000002FC4: 266C008F
	v_lshrrev_b32_e32 v56, 2, v54                              // 000000002FC8: 20706C82
	v_lshlrev_b32_e32 v56, 6, v56                              // 000000002FCC: 24707086
	v_add_u32_e32 v55, v56, v55                                // 000000002FD0: 686E6F38
	v_and_b32_e32 v54, 3, v0                                   // 000000002FD4: 266C0083
	v_mul_i32_i24_e32 v56, 0x208, v54                          // 000000002FD8: 0C706CFF 00000208
	v_add_u32_e32 v55, v56, v55                                // 000000002FE0: 686E6F38
	v_lshlrev_b32_e32 v2, 2, v55                               // 000000002FE4: 24046E82
	s_mul_i32 s60, s2, 0x200                                   // 000000002FE8: 923CFF02 00000200
	s_mul_i32 s60, s60, s69                                    // 000000002FF0: 923C453C
	s_mul_i32 s61, s77, s72                                    // 000000002FF4: 923D484D
	s_add_u32 s60, s61, s60                                    // 000000002FF8: 803C3C3D
	s_add_u32 s24, s60, s24                                    // 000000002FFC: 8018183C
	s_addc_u32 s25, 0, s25                                     // 000000003000: 82191980
	s_mul_i32 s60, s5, 16                                      // 000000003004: 923C9005
	s_mul_i32 s60, s60, s69                                    // 000000003008: 923C453C
	v_lshlrev_b32_e32 v34, 4, v0                               // 00000000300C: 24440084
	v_add_u32_e32 v34, s60, v34                                // 000000003010: 6844443C
	s_mul_i32 s60, 64, s69                                     // 000000003014: 923C45C0
	v_add_u32_e32 v35, s60, v34                                // 000000003018: 6846443C
	v_add_u32_e32 v36, s60, v35                                // 00000000301C: 6848463C
	v_add_u32_e32 v37, s60, v36                                // 000000003020: 684A483C
	v_add_u32_e32 v38, s60, v37                                // 000000003024: 684C4A3C
	v_add_u32_e32 v39, s60, v38                                // 000000003028: 684E4C3C
	v_add_u32_e32 v40, s60, v39                                // 00000000302C: 68504E3C
	v_add_u32_e32 v41, s60, v40                                // 000000003030: 6852503C
	s_mul_i32 s60, s2, 0x2000                                  // 000000003034: 923CFF02 00002000
	s_mul_i32 s61, s77, s73                                    // 00000000303C: 923D494D
	s_add_u32 s60, s61, s60                                    // 000000003040: 803C3C3D
	s_add_u32 s12, s60, s12                                    // 000000003044: 800C0C3C
	s_addc_u32 s13, 0, s13                                     // 000000003048: 820D0D80
	s_mul_i32 s60, s5, 16                                      // 00000000304C: 923C9005
	s_mul_i32 s60, s60, s70                                    // 000000003050: 923C463C
	v_lshlrev_b32_e32 v42, 4, v0                               // 000000003054: 24540084
	v_add_u32_e32 v42, s60, v42                                // 000000003058: 6854543C
	s_mul_i32 s60, 64, s70                                     // 00000000305C: 923C46C0
	v_add_u32_e32 v43, s60, v42                                // 000000003060: 6856543C
	v_add_u32_e32 v44, s60, v43                                // 000000003064: 6858563C
	v_add_u32_e32 v45, s60, v44                                // 000000003068: 685A583C
	s_mul_i32 s60, s3, 32                                      // 00000000306C: 923CA003
	s_mul_i32 s60, 4, s60                                      // 000000003070: 923C3C84
	s_add_u32 s40, s60, s40                                    // 000000003074: 8028283C
	s_addc_u32 s41, 0, s41                                     // 000000003078: 82292980
	v_and_b32_e32 v54, 15, v0                                  // 00000000307C: 266C008F
	v_lshlrev_b32_e32 v8, 2, v54                               // 000000003080: 24106C82
	v_add_u32_e32 v9, 64, v8                                   // 000000003084: 681210C0
	v_lshrrev_b32_e32 v54, 4, v0                               // 000000003088: 206C0084
	v_lshlrev_b32_e32 v55, 2, v54                              // 00000000308C: 246E6C82
	v_and_b32_e32 v54, 15, v0                                  // 000000003090: 266C008F
	v_lshrrev_b32_e32 v56, 2, v54                              // 000000003094: 20706C82
	v_lshlrev_b32_e32 v56, 6, v56                              // 000000003098: 24707086
	v_add_u32_e32 v55, v56, v55                                // 00000000309C: 686E6F38
	v_and_b32_e32 v54, 3, v0                                   // 0000000030A0: 266C0083
	v_add_u32_e32 v55, v54, v55                                // 0000000030A4: 686E6F36
	v_lshlrev_b32_e32 v10, 2, v55                              // 0000000030A8: 24146E82
	v_add_u32_e32 v11, 0x400, v10                              // 0000000030AC: 681614FF 00000400
	s_mul_i32 s60, s5, 16                                      // 0000000030B4: 923C9005
	s_mul_i32 s60, s60, 4                                      // 0000000030B8: 923C843C
	v_add_u32_e32 v10, s60, v10                                // 0000000030BC: 6814143C
	v_add_u32_e32 v11, s60, v11                                // 0000000030C0: 6816163C
	v_mov_b32_e32 v5, v10                                      // 0000000030C4: 7E0A030A
	s_mul_i32 s60, s2, 0x200                                   // 0000000030C8: 923CFF02 00000200
	s_mul_i32 s60, s60, 4                                      // 0000000030D0: 923C843C
	s_mul_i32 s61, s77, s74                                    // 0000000030D4: 923D4A4D
	s_add_u32 s61, s61, s60                                    // 0000000030D8: 803D3C3D
	s_mul_i32 s62, s77, s76                                    // 0000000030DC: 923E4C4D
	s_add_u32 s62, s62, s60                                    // 0000000030E0: 803E3C3E
	s_add_u32 s32, s61, s32                                    // 0000000030E4: 8020203D
	s_addc_u32 s33, 0, s33                                     // 0000000030E8: 82212180
	s_add_u32 s36, s62, s36                                    // 0000000030EC: 8024243E
	s_addc_u32 s37, 0, s37                                     // 0000000030F0: 82252580
	s_mul_i32 s60, s77, s75                                    // 0000000030F4: 923C4B4D
	s_add_u32 s16, s60, s16                                    // 0000000030F8: 8010103C
	s_addc_u32 s17, 0, s17                                     // 0000000030FC: 82111180
	s_mov_b32 s57, 0x100                                       // 000000003100: BEB900FF 00000100
	s_mov_b32 s58, 0x1000                                      // 000000003108: BEBA00FF 00001000
	s_mov_b32 s79, 0x400                                       // 000000003110: BECF00FF 00000400
	s_mov_b32 s59, 0                                           // 000000003118: BEBB0080
	s_mul_i32 s60, s70, 0x100                                  // 00000000311C: 923CFF46 00000100
	s_sub_u32 s56, s60, 0x1000                                 // 000000003124: 80B8FF3C 00001000
	s_mov_b32 s78, 0x1000                                      // 00000000312C: BECE00FF 00001000
	s_mov_b32 s52, 0x7060302                                   // 000000003134: BEB400FF 07060302
	s_mov_b32 s53, 0x400                                       // 00000000313C: BEB500FF 00000400
	s_mov_b32 s54, 0x40100                                     // 000000003144: BEB600FF 00040100
	s_mov_b32 s55, 0x4020100                                   // 00000000314C: BEB700FF 04020100
	s_mov_b32 s6, 0x3fb8aa3b                                   // 000000003154: BE8600FF 3FB8AA3B
	s_mov_b32 s7, 0x3fb8aa3b                                   // 00000000315C: BE8700FF 3FB8AA3B
	s_mov_b32 s82, 0xbd92220c                                  // 000000003164: BED200FF BD92220C
	s_mov_b32 s83, 0xbd92220c                                  // 00000000316C: BED300FF BD92220C
	s_mov_b32 m0, s50                                          // 000000003174: BEFC0032
	v_mov_b32_e32 v58, 0xbfcc4231                              // 000000003178: 7E7402FF BFCC4231
	v_mov_b32_e32 v59, 0xbfcc4231                              // 000000003180: 7E7602FF BFCC4231
	v_mov_b32_e32 v51, 0xffff0000                              // 000000003188: 7E6602FF FFFF0000
	v_mov_b32_e32 v52, 0x7fff0000                              // 000000003190: 7E6802FF 7FFF0000
	v_mov_b32_e32 v53, 0x7fff                                  // 000000003198: 7E6A02FF 00007FFF
	s_waitcnt vmcnt(0) expcnt(0) lgkmcnt(0)                    // 0000000031A0: BF8C0000
	v_lshrrev_b32_e32 v54, 24, v6                              // 0000000031A4: 206C0C98
	v_mul_i32_i24_e32 v54, s66, v54                            // 0000000031A8: 0C6C6C42
	v_and_b32_e32 v55, 0xffffff, v6                            // 0000000031AC: 266E0CFF 00FFFFFF
	v_add_u32_e32 v6, v54, v55                                 // 0000000031B4: 680C6F36
	v_lshrrev_b32_e32 v54, 24, v7                              // 0000000031B8: 206C0E98
	v_mul_i32_i24_e32 v54, s66, v54                            // 0000000031BC: 0C6C6C42
	v_and_b32_e32 v55, 0xffffff, v7                            // 0000000031C0: 266E0EFF 00FFFFFF
	v_add_u32_e32 v7, v54, v55                                 // 0000000031C8: 680E6F36
	v_lshlrev_b32_e32 v6, 2, v6                                // 0000000031CC: 240C0C82
	v_lshlrev_b32_e32 v7, 2, v7                                // 0000000031D0: 240E0E82
	buffer_load_dword v14, v6, s[28:31], 0 offen               // 0000000031D4: E0501000 80070E06
	buffer_load_dword v15, v7, s[28:31], 0 offen               // 0000000031DC: E0501000 80070F07
	buffer_load_dword v16, v10, s[32:35], 0 offen              // 0000000031E4: E0501000 8008100A
	buffer_load_dword v17, v11, s[32:35], 0 offen              // 0000000031EC: E0501000 8008110B
	buffer_load_dword v18, v10, s[36:39], 0 offen              // 0000000031F4: E0501000 8009120A
	buffer_load_dword v19, v11, s[36:39], 0 offen              // 0000000031FC: E0501000 8009130B
	buffer_load_dword v20, v8, s[40:43], 0 offen               // 000000003204: E0501000 800A1408
	buffer_load_dword v21, v9, s[40:43], 0 offen               // 00000000320C: E0501000 800A1509
	buffer_load_dword v26, s[20:23], 0 offen lds               // 000000003214: E0511000 8005001A
	s_add_u32 m0, 0x100, s50                                   // 00000000321C: 807C32FF 00000100
	buffer_load_dword v27, s[20:23], 0 offen lds               // 000000003224: E0511000 8005001B
	s_add_u32 m0, 0x200, s50                                   // 00000000322C: 807C32FF 00000200
	buffer_load_dword v28, s[20:23], 0 offen lds               // 000000003234: E0511000 8005001C
	s_add_u32 m0, 0x300, s50                                   // 00000000323C: 807C32FF 00000300
	buffer_load_dword v29, s[20:23], 0 offen lds               // 000000003244: E0511000 8005001D
	s_add_u32 m0, 0x400, s50                                   // 00000000324C: 807C32FF 00000400
	buffer_load_dword v30, s[20:23], 0 offen lds               // 000000003254: E0511000 8005001E
	s_add_u32 m0, 0x500, s50                                   // 00000000325C: 807C32FF 00000500
	buffer_load_dword v31, s[20:23], 0 offen lds               // 000000003264: E0511000 8005001F
	s_add_u32 m0, 0x600, s50                                   // 00000000326C: 807C32FF 00000600
	buffer_load_dword v32, s[20:23], 0 offen lds               // 000000003274: E0511000 80050020
	s_add_u32 m0, 0x700, s50                                   // 00000000327C: 807C32FF 00000700
	buffer_load_dword v33, s[20:23], 0 offen lds               // 000000003284: E0511000 80050021
	s_add_u32 m0, 0, s51                                       // 00000000328C: 807C3380
	s_add_u32 s20, s57, s20                                    // 000000003290: 80141439
	s_addc_u32 s21, 0, s21                                     // 000000003294: 82151580
	buffer_load_dword v26, s[20:23], 0 offen lds               // 000000003298: E0511000 8005001A
	s_add_u32 m0, 0x100, s51                                   // 0000000032A0: 807C33FF 00000100
	buffer_load_dword v27, s[20:23], 0 offen lds               // 0000000032A8: E0511000 8005001B
	s_add_u32 m0, 0x200, s51                                   // 0000000032B0: 807C33FF 00000200
	buffer_load_dword v28, s[20:23], 0 offen lds               // 0000000032B8: E0511000 8005001C
	s_add_u32 m0, 0x300, s51                                   // 0000000032C0: 807C33FF 00000300
	buffer_load_dword v29, s[20:23], 0 offen lds               // 0000000032C8: E0511000 8005001D
	s_add_u32 m0, 0x400, s51                                   // 0000000032D0: 807C33FF 00000400
	buffer_load_dword v30, s[20:23], 0 offen lds               // 0000000032D8: E0511000 8005001E
	s_add_u32 m0, 0x500, s51                                   // 0000000032E0: 807C33FF 00000500
	buffer_load_dword v31, s[20:23], 0 offen lds               // 0000000032E8: E0511000 8005001F
	s_add_u32 m0, 0x600, s51                                   // 0000000032F0: 807C33FF 00000600
	buffer_load_dword v32, s[20:23], 0 offen lds               // 0000000032F8: E0511000 80050020
	s_add_u32 m0, 0x700, s51                                   // 000000003300: 807C33FF 00000700
	buffer_load_dword v33, s[20:23], 0 offen lds               // 000000003308: E0511000 80050021
	s_add_u32 m0, 0, s50                                       // 000000003310: 807C3280
	s_add_u32 s20, s57, s20                                    // 000000003314: 80141439
	s_addc_u32 s21, 0, s21                                     // 000000003318: 82151580
	buffer_load_dwordx4 a[0:3], v34, s[24:27], 0 offen         // 00000000331C: E05C1000 80860022
	buffer_load_dwordx4 a[4:7], v34, s[24:27], 0 offen offset:1024// 000000003324: E05C1400 80860422
	buffer_load_dwordx4 a[8:11], v34, s[24:27], 0 offen offset:2048// 00000000332C: E05C1800 80860822
	buffer_load_dwordx4 a[12:15], v34, s[24:27], 0 offen offset:3072// 000000003334: E05C1C00 80860C22
	buffer_load_dwordx4 a[16:19], v35, s[24:27], 0 offen       // 00000000333C: E05C1000 80861023
	buffer_load_dwordx4 a[20:23], v35, s[24:27], 0 offen offset:1024// 000000003344: E05C1400 80861423
	buffer_load_dwordx4 a[24:27], v35, s[24:27], 0 offen offset:2048// 00000000334C: E05C1800 80861823
	buffer_load_dwordx4 a[28:31], v35, s[24:27], 0 offen offset:3072// 000000003354: E05C1C00 80861C23
	buffer_load_dwordx4 a[32:35], v36, s[24:27], 0 offen       // 00000000335C: E05C1000 80862024
	buffer_load_dwordx4 a[36:39], v36, s[24:27], 0 offen offset:1024// 000000003364: E05C1400 80862424
	buffer_load_dwordx4 a[40:43], v36, s[24:27], 0 offen offset:2048// 00000000336C: E05C1800 80862824
	buffer_load_dwordx4 a[44:47], v36, s[24:27], 0 offen offset:3072// 000000003374: E05C1C00 80862C24
	buffer_load_dwordx4 a[48:51], v37, s[24:27], 0 offen       // 00000000337C: E05C1000 80863025
	buffer_load_dwordx4 a[52:55], v37, s[24:27], 0 offen offset:1024// 000000003384: E05C1400 80863425
	buffer_load_dwordx4 a[56:59], v37, s[24:27], 0 offen offset:2048// 00000000338C: E05C1800 80863825
	buffer_load_dwordx4 a[60:63], v37, s[24:27], 0 offen offset:3072// 000000003394: E05C1C00 80863C25
	buffer_load_dwordx4 a[64:67], v38, s[24:27], 0 offen       // 00000000339C: E05C1000 80864026
	buffer_load_dwordx4 a[68:71], v38, s[24:27], 0 offen offset:1024// 0000000033A4: E05C1400 80864426
	buffer_load_dwordx4 a[72:75], v38, s[24:27], 0 offen offset:2048// 0000000033AC: E05C1800 80864826
	buffer_load_dwordx4 a[76:79], v38, s[24:27], 0 offen offset:3072// 0000000033B4: E05C1C00 80864C26
	buffer_load_dwordx4 a[80:83], v39, s[24:27], 0 offen       // 0000000033BC: E05C1000 80865027
	buffer_load_dwordx4 a[84:87], v39, s[24:27], 0 offen offset:1024// 0000000033C4: E05C1400 80865427
	buffer_load_dwordx4 a[88:91], v39, s[24:27], 0 offen offset:2048// 0000000033CC: E05C1800 80865827
	buffer_load_dwordx4 a[92:95], v39, s[24:27], 0 offen offset:3072// 0000000033D4: E05C1C00 80865C27
	buffer_load_dwordx4 a[96:99], v40, s[24:27], 0 offen       // 0000000033DC: E05C1000 80866028
	buffer_load_dwordx4 a[100:103], v40, s[24:27], 0 offen offset:1024// 0000000033E4: E05C1400 80866428
	buffer_load_dwordx4 a[104:107], v40, s[24:27], 0 offen offset:2048// 0000000033EC: E05C1800 80866828
	buffer_load_dwordx4 a[108:111], v40, s[24:27], 0 offen offset:3072// 0000000033F4: E05C1C00 80866C28
	buffer_load_dwordx4 a[112:115], v41, s[24:27], 0 offen     // 0000000033FC: E05C1000 80867029
	buffer_load_dwordx4 a[116:119], v41, s[24:27], 0 offen offset:1024// 000000003404: E05C1400 80867429
	buffer_load_dwordx4 a[120:123], v41, s[24:27], 0 offen offset:2048// 00000000340C: E05C1800 80867829
	buffer_load_dwordx4 a[124:127], v41, s[24:27], 0 offen offset:3072// 000000003414: E05C1C00 80867C29
	s_add_u32 s24, s58, s24                                    // 00000000341C: 8018183A
	s_addc_u32 s25, 0, s25                                     // 000000003420: 82191980
	v_mov_b32_e32 v128, 0                                      // 000000003424: 7F000280
	v_mov_b32_e32 v129, 0                                      // 000000003428: 7F020280
	v_mov_b32_e32 v130, 0                                      // 00000000342C: 7F040280
	v_mov_b32_e32 v131, 0                                      // 000000003430: 7F060280
	v_mov_b32_e32 v132, 0                                      // 000000003434: 7F080280
	v_mov_b32_e32 v133, 0                                      // 000000003438: 7F0A0280
	v_mov_b32_e32 v134, 0                                      // 00000000343C: 7F0C0280
	v_mov_b32_e32 v135, 0                                      // 000000003440: 7F0E0280
	v_mov_b32_e32 v136, 0                                      // 000000003444: 7F100280
	v_mov_b32_e32 v137, 0                                      // 000000003448: 7F120280
	v_mov_b32_e32 v138, 0                                      // 00000000344C: 7F140280
	v_mov_b32_e32 v139, 0                                      // 000000003450: 7F160280
	v_mov_b32_e32 v140, 0                                      // 000000003454: 7F180280
	v_mov_b32_e32 v141, 0                                      // 000000003458: 7F1A0280
	v_mov_b32_e32 v142, 0                                      // 00000000345C: 7F1C0280
	v_mov_b32_e32 v143, 0                                      // 000000003460: 7F1E0280
	v_mov_b32_e32 v144, 0                                      // 000000003464: 7F200280
	v_mov_b32_e32 v145, 0                                      // 000000003468: 7F220280
	v_mov_b32_e32 v146, 0                                      // 00000000346C: 7F240280
	v_mov_b32_e32 v147, 0                                      // 000000003470: 7F260280
	v_mov_b32_e32 v148, 0                                      // 000000003474: 7F280280
	v_mov_b32_e32 v149, 0                                      // 000000003478: 7F2A0280
	v_mov_b32_e32 v150, 0                                      // 00000000347C: 7F2C0280
	v_mov_b32_e32 v151, 0                                      // 000000003480: 7F2E0280
	v_mov_b32_e32 v152, 0                                      // 000000003484: 7F300280
	v_mov_b32_e32 v153, 0                                      // 000000003488: 7F320280
	v_mov_b32_e32 v154, 0                                      // 00000000348C: 7F340280
	v_mov_b32_e32 v155, 0                                      // 000000003490: 7F360280
	v_mov_b32_e32 v156, 0                                      // 000000003494: 7F380280
	v_mov_b32_e32 v157, 0                                      // 000000003498: 7F3A0280
	v_mov_b32_e32 v158, 0                                      // 00000000349C: 7F3C0280
	v_mov_b32_e32 v159, 0                                      // 0000000034A0: 7F3E0280
	v_mov_b32_e32 v160, 0                                      // 0000000034A4: 7F400280
	v_mov_b32_e32 v161, 0                                      // 0000000034A8: 7F420280
	v_mov_b32_e32 v162, 0                                      // 0000000034AC: 7F440280
	v_mov_b32_e32 v163, 0                                      // 0000000034B0: 7F460280
	v_mov_b32_e32 v164, 0                                      // 0000000034B4: 7F480280
	v_mov_b32_e32 v165, 0                                      // 0000000034B8: 7F4A0280
	v_mov_b32_e32 v166, 0                                      // 0000000034BC: 7F4C0280
	v_mov_b32_e32 v167, 0                                      // 0000000034C0: 7F4E0280
	v_mov_b32_e32 v168, 0                                      // 0000000034C4: 7F500280
	v_mov_b32_e32 v169, 0                                      // 0000000034C8: 7F520280
	v_mov_b32_e32 v170, 0                                      // 0000000034CC: 7F540280
	v_mov_b32_e32 v171, 0                                      // 0000000034D0: 7F560280
	v_mov_b32_e32 v172, 0                                      // 0000000034D4: 7F580280
	v_mov_b32_e32 v173, 0                                      // 0000000034D8: 7F5A0280
	v_mov_b32_e32 v174, 0                                      // 0000000034DC: 7F5C0280
	v_mov_b32_e32 v175, 0                                      // 0000000034E0: 7F5E0280
	v_mov_b32_e32 v176, 0                                      // 0000000034E4: 7F600280
	v_mov_b32_e32 v177, 0                                      // 0000000034E8: 7F620280
	v_mov_b32_e32 v178, 0                                      // 0000000034EC: 7F640280
	v_mov_b32_e32 v179, 0                                      // 0000000034F0: 7F660280
	v_mov_b32_e32 v180, 0                                      // 0000000034F4: 7F680280
	v_mov_b32_e32 v181, 0                                      // 0000000034F8: 7F6A0280
	v_mov_b32_e32 v182, 0                                      // 0000000034FC: 7F6C0280
	v_mov_b32_e32 v183, 0                                      // 000000003500: 7F6E0280
	v_mov_b32_e32 v184, 0                                      // 000000003504: 7F700280
	v_mov_b32_e32 v185, 0                                      // 000000003508: 7F720280
	v_mov_b32_e32 v186, 0                                      // 00000000350C: 7F740280
	v_mov_b32_e32 v187, 0                                      // 000000003510: 7F760280
	v_mov_b32_e32 v188, 0                                      // 000000003514: 7F780280
	v_mov_b32_e32 v189, 0                                      // 000000003518: 7F7A0280
	v_mov_b32_e32 v190, 0                                      // 00000000351C: 7F7C0280
	v_mov_b32_e32 v191, 0                                      // 000000003520: 7F7E0280
	v_lshrrev_b32_e32 v54, 4, v0                               // 000000003524: 206C0084
	v_mul_i32_i24_e32 v3, 34, v54                              // 000000003528: 0C066CA2
	v_and_b32_e32 v54, 15, v0                                  // 00000000352C: 266C008F
	v_mul_i32_i24_e32 v55, 2, v54                              // 000000003530: 0C6E6C82
	v_add_u32_e32 v3, v55, v3                                  // 000000003534: 68060737
	s_mul_i32 s60, s5, 0x88                                    // 000000003538: 923CFF05 00000088
	v_add_u32_e32 v3, s60, v3                                  // 000000003540: 6806063C
	v_lshlrev_b32_e32 v3, 2, v3                                // 000000003544: 24060682
	v_lshrrev_b32_e32 v54, 1, v0                               // 000000003548: 206C0081
	v_mul_i32_i24_e32 v4, 34, v54                              // 00000000354C: 0C086CA2
	v_and_b32_e32 v55, 1, v0                                   // 000000003550: 266E0081
	v_add_u32_e32 v4, v55, v4                                  // 000000003554: 68080937
	s_mul_i32 s60, s5, 2                                       // 000000003558: 923C8205
	v_add_u32_e32 v4, s60, v4                                  // 00000000355C: 6808083C
	v_lshlrev_b32_e32 v4, 2, v4                                // 000000003560: 24080882
	s_waitcnt vmcnt(40)                                        // 000000003564: BF8C8F78
	s_barrier                                                  // 000000003568: BF8A0000
	ds_read_b128 v[192:195], v2                                // 00000000356C: D9FE0000 C0000002
	ds_read_b128 v[196:199], v2 offset:64                      // 000000003574: D9FE0040 C4000002
	ds_read_b128 v[200:203], v2 offset:128                     // 00000000357C: D9FE0080 C8000002
	ds_read_b128 v[204:207], v2 offset:192                     // 000000003584: D9FE00C0 CC000002
	ds_read_b128 v[208:211], v2 offset:1024                    // 00000000358C: D9FE0400 D0000002
	ds_read_b128 v[212:215], v2 offset:1088                    // 000000003594: D9FE0440 D4000002
	ds_read_b128 v[216:219], v2 offset:1152                    // 00000000359C: D9FE0480 D8000002
	ds_read_b128 v[220:223], v2 offset:1216                    // 0000000035A4: D9FE04C0 DC000002
	s_cmp_lt_i32 s5, 2                                         // 0000000035AC: BF048205
	s_cbranch_scc0 label_12A5                                  // 0000000035B0: BF840FF8

00000000000035b4 <label_02AD>:
	s_waitcnt vmcnt(24) lgkmcnt(0)                             // 0000000035B4: BF8C4078
	s_barrier                                                  // 0000000035B8: BF8A0000
	v_mfma_i32_16x16x32_i8 v[128:131], a[0:1], v[192:193], v[128:131]// 0000000035BC: D3D70080 0E038100
	v_mfma_i32_16x16x32_i8 v[128:131], a[2:3], v[194:195], v[128:131]// 0000000035C4: D3D70080 0E038502
	buffer_load_dwordx4 a[128:131], v34, s[24:27], 0 offen     // 0000000035CC: E05C1000 80868022
	v_mfma_i32_16x16x32_i8 v[128:131], a[4:5], v[196:197], v[128:131]// 0000000035D4: D3D70080 0E038904
	v_mfma_i32_16x16x32_i8 v[128:131], a[6:7], v[198:199], v[128:131]// 0000000035DC: D3D70080 0E038D06
	buffer_load_dword v26, s[20:23], 0 offen lds               // 0000000035E4: E0511000 8005001A
	s_add_u32 m0, 0x100, s50                                   // 0000000035EC: 807C32FF 00000100
	v_mfma_i32_16x16x32_i8 v[128:131], a[8:9], v[200:201], v[128:131]// 0000000035F4: D3D70080 0E039108
	v_mfma_i32_16x16x32_i8 v[128:131], a[10:11], v[202:203], v[128:131]// 0000000035FC: D3D70080 0E03950A
	buffer_load_dwordx4 a[132:135], v34, s[24:27], 0 offen offset:1024// 000000003604: E05C1400 80868422
	v_mfma_i32_16x16x32_i8 v[128:131], a[12:13], v[204:205], v[128:131]// 00000000360C: D3D70080 0E03990C
	v_mfma_i32_16x16x32_i8 v[128:131], a[14:15], v[206:207], v[128:131]// 000000003614: D3D70080 0E039D0E
	buffer_load_dword v27, s[20:23], 0 offen lds               // 00000000361C: E0511000 8005001B
	s_add_u32 m0, 0x200, s50                                   // 000000003624: 807C32FF 00000200
	v_mfma_i32_16x16x32_i8 v[132:135], a[0:1], v[208:209], v[132:135]// 00000000362C: D3D70084 0E13A100
	v_mfma_i32_16x16x32_i8 v[132:135], a[2:3], v[210:211], v[132:135]// 000000003634: D3D70084 0E13A502
	buffer_load_dwordx4 a[136:139], v34, s[24:27], 0 offen offset:2048// 00000000363C: E05C1800 80868822
	v_mfma_i32_16x16x32_i8 v[132:135], a[4:5], v[212:213], v[132:135]// 000000003644: D3D70084 0E13A904
	v_mfma_i32_16x16x32_i8 v[132:135], a[6:7], v[214:215], v[132:135]// 00000000364C: D3D70084 0E13AD06
	buffer_load_dword v28, s[20:23], 0 offen lds               // 000000003654: E0511000 8005001C
	s_add_u32 m0, 0x300, s50                                   // 00000000365C: 807C32FF 00000300
	v_mfma_i32_16x16x32_i8 v[132:135], a[8:9], v[216:217], v[132:135]// 000000003664: D3D70084 0E13B108
	v_mfma_i32_16x16x32_i8 v[132:135], a[10:11], v[218:219], v[132:135]// 00000000366C: D3D70084 0E13B50A
	buffer_load_dwordx4 a[140:143], v34, s[24:27], 0 offen offset:3072// 000000003674: E05C1C00 80868C22
	v_mfma_i32_16x16x32_i8 v[132:135], a[12:13], v[220:221], v[132:135]// 00000000367C: D3D70084 0E13B90C
	v_mfma_i32_16x16x32_i8 v[132:135], a[14:15], v[222:223], v[132:135]// 000000003684: D3D70084 0E13BD0E
	buffer_load_dword v29, s[20:23], 0 offen lds               // 00000000368C: E0511000 8005001D
	s_add_u32 m0, 0x400, s50                                   // 000000003694: 807C32FF 00000400
	v_mfma_i32_16x16x32_i8 v[136:139], a[16:17], v[192:193], v[136:139]// 00000000369C: D3D70088 0E238110
	v_mfma_i32_16x16x32_i8 v[136:139], a[18:19], v[194:195], v[136:139]// 0000000036A4: D3D70088 0E238512
	buffer_load_dwordx4 a[144:147], v35, s[24:27], 0 offen     // 0000000036AC: E05C1000 80869023
	v_mfma_i32_16x16x32_i8 v[136:139], a[20:21], v[196:197], v[136:139]// 0000000036B4: D3D70088 0E238914
	v_mfma_i32_16x16x32_i8 v[136:139], a[22:23], v[198:199], v[136:139]// 0000000036BC: D3D70088 0E238D16
	buffer_load_dword v30, s[20:23], 0 offen lds               // 0000000036C4: E0511000 8005001E
	s_add_u32 m0, 0x500, s50                                   // 0000000036CC: 807C32FF 00000500
	v_mfma_i32_16x16x32_i8 v[136:139], a[24:25], v[200:201], v[136:139]// 0000000036D4: D3D70088 0E239118
	v_mfma_i32_16x16x32_i8 v[136:139], a[26:27], v[202:203], v[136:139]// 0000000036DC: D3D70088 0E23951A
	buffer_load_dwordx4 a[148:151], v35, s[24:27], 0 offen offset:1024// 0000000036E4: E05C1400 80869423
	v_mfma_i32_16x16x32_i8 v[136:139], a[28:29], v[204:205], v[136:139]// 0000000036EC: D3D70088 0E23991C
	v_mfma_i32_16x16x32_i8 v[136:139], a[30:31], v[206:207], v[136:139]// 0000000036F4: D3D70088 0E239D1E
	buffer_load_dword v31, s[20:23], 0 offen lds               // 0000000036FC: E0511000 8005001F
	s_add_u32 m0, 0x600, s50                                   // 000000003704: 807C32FF 00000600
	v_mfma_i32_16x16x32_i8 v[140:143], a[16:17], v[208:209], v[140:143]// 00000000370C: D3D7008C 0E33A110
	v_mfma_i32_16x16x32_i8 v[140:143], a[18:19], v[210:211], v[140:143]// 000000003714: D3D7008C 0E33A512
	buffer_load_dwordx4 a[152:155], v35, s[24:27], 0 offen offset:2048// 00000000371C: E05C1800 80869823
	v_mfma_i32_16x16x32_i8 v[140:143], a[20:21], v[212:213], v[140:143]// 000000003724: D3D7008C 0E33A914
	v_mfma_i32_16x16x32_i8 v[140:143], a[22:23], v[214:215], v[140:143]// 00000000372C: D3D7008C 0E33AD16
	buffer_load_dword v32, s[20:23], 0 offen lds               // 000000003734: E0511000 80050020
	s_add_u32 m0, 0x700, s50                                   // 00000000373C: 807C32FF 00000700
	v_mfma_i32_16x16x32_i8 v[140:143], a[24:25], v[216:217], v[140:143]// 000000003744: D3D7008C 0E33B118
	v_mfma_i32_16x16x32_i8 v[140:143], a[26:27], v[218:219], v[140:143]// 00000000374C: D3D7008C 0E33B51A
	buffer_load_dwordx4 a[156:159], v35, s[24:27], 0 offen offset:3072// 000000003754: E05C1C00 80869C23
	v_mfma_i32_16x16x32_i8 v[140:143], a[28:29], v[220:221], v[140:143]// 00000000375C: D3D7008C 0E33B91C
	v_mfma_i32_16x16x32_i8 v[140:143], a[30:31], v[222:223], v[140:143]// 000000003764: D3D7008C 0E33BD1E
	buffer_load_dword v33, s[20:23], 0 offen lds               // 00000000376C: E0511000 80050021
	s_add_u32 m0, 0, s51                                       // 000000003774: 807C3380
	s_waitcnt vmcnt(32)                                        // 000000003778: BF8C8F70
	v_mfma_i32_16x16x32_i8 v[144:147], a[32:33], v[192:193], v[144:147]// 00000000377C: D3D70090 0E438120
	v_mfma_i32_16x16x32_i8 v[144:147], a[34:35], v[194:195], v[144:147]// 000000003784: D3D70090 0E438522
	buffer_load_dwordx4 a[160:163], v36, s[24:27], 0 offen     // 00000000378C: E05C1000 8086A024
	v_mfma_i32_16x16x32_i8 v[144:147], a[36:37], v[196:197], v[144:147]// 000000003794: D3D70090 0E438924
	v_mfma_i32_16x16x32_i8 v[144:147], a[38:39], v[198:199], v[144:147]// 00000000379C: D3D70090 0E438D26
	ds_read_b128 v[224:227], v2 offset:8320                    // 0000000037A4: D9FE2080 E0000002
	v_mfma_i32_16x16x32_i8 v[144:147], a[40:41], v[200:201], v[144:147]// 0000000037AC: D3D70090 0E439128
	v_mfma_i32_16x16x32_i8 v[144:147], a[42:43], v[202:203], v[144:147]// 0000000037B4: D3D70090 0E43952A
	buffer_load_dwordx4 a[164:167], v36, s[24:27], 0 offen offset:1024// 0000000037BC: E05C1400 8086A424
	v_mfma_i32_16x16x32_i8 v[144:147], a[44:45], v[204:205], v[144:147]// 0000000037C4: D3D70090 0E43992C
	v_mfma_i32_16x16x32_i8 v[144:147], a[46:47], v[206:207], v[144:147]// 0000000037CC: D3D70090 0E439D2E
	ds_read_b128 v[228:231], v2 offset:8384                    // 0000000037D4: D9FE20C0 E4000002
	v_mfma_i32_16x16x32_i8 v[148:151], a[32:33], v[208:209], v[148:151]// 0000000037DC: D3D70094 0E53A120
	v_mfma_i32_16x16x32_i8 v[148:151], a[34:35], v[210:211], v[148:151]// 0000000037E4: D3D70094 0E53A522
	buffer_load_dwordx4 a[168:171], v36, s[24:27], 0 offen offset:2048// 0000000037EC: E05C1800 8086A824
	v_mfma_i32_16x16x32_i8 v[148:151], a[36:37], v[212:213], v[148:151]// 0000000037F4: D3D70094 0E53A924
	v_mfma_i32_16x16x32_i8 v[148:151], a[38:39], v[214:215], v[148:151]// 0000000037FC: D3D70094 0E53AD26
	ds_read_b128 v[232:235], v2 offset:8448                    // 000000003804: D9FE2100 E8000002
	v_mfma_i32_16x16x32_i8 v[148:151], a[40:41], v[216:217], v[148:151]// 00000000380C: D3D70094 0E53B128
	v_mfma_i32_16x16x32_i8 v[148:151], a[42:43], v[218:219], v[148:151]// 000000003814: D3D70094 0E53B52A
	buffer_load_dwordx4 a[172:175], v36, s[24:27], 0 offen offset:3072// 00000000381C: E05C1C00 8086AC24
	v_mfma_i32_16x16x32_i8 v[148:151], a[44:45], v[220:221], v[148:151]// 000000003824: D3D70094 0E53B92C
	v_mfma_i32_16x16x32_i8 v[148:151], a[46:47], v[222:223], v[148:151]// 00000000382C: D3D70094 0E53BD2E
	ds_read_b128 v[236:239], v2 offset:8512                    // 000000003834: D9FE2140 EC000002
	v_mfma_i32_16x16x32_i8 v[152:155], a[48:49], v[192:193], v[152:155]// 00000000383C: D3D70098 0E638130
	v_mfma_i32_16x16x32_i8 v[152:155], a[50:51], v[194:195], v[152:155]// 000000003844: D3D70098 0E638532
	buffer_load_dwordx4 a[176:179], v37, s[24:27], 0 offen     // 00000000384C: E05C1000 8086B025
	v_mfma_i32_16x16x32_i8 v[152:155], a[52:53], v[196:197], v[152:155]// 000000003854: D3D70098 0E638934
	v_mfma_i32_16x16x32_i8 v[152:155], a[54:55], v[198:199], v[152:155]// 00000000385C: D3D70098 0E638D36
	ds_read_b128 v[240:243], v2 offset:9344                    // 000000003864: D9FE2480 F0000002
	v_mfma_i32_16x16x32_i8 v[152:155], a[56:57], v[200:201], v[152:155]// 00000000386C: D3D70098 0E639138
	v_mfma_i32_16x16x32_i8 v[152:155], a[58:59], v[202:203], v[152:155]// 000000003874: D3D70098 0E63953A
	buffer_load_dwordx4 a[180:183], v37, s[24:27], 0 offen offset:1024// 00000000387C: E05C1400 8086B425
	v_mfma_i32_16x16x32_i8 v[152:155], a[60:61], v[204:205], v[152:155]// 000000003884: D3D70098 0E63993C
	v_mfma_i32_16x16x32_i8 v[152:155], a[62:63], v[206:207], v[152:155]// 00000000388C: D3D70098 0E639D3E
	ds_read_b128 v[244:247], v2 offset:9408                    // 000000003894: D9FE24C0 F4000002
	v_mfma_i32_16x16x32_i8 v[156:159], a[48:49], v[208:209], v[156:159]// 00000000389C: D3D7009C 0E73A130
	v_mfma_i32_16x16x32_i8 v[156:159], a[50:51], v[210:211], v[156:159]// 0000000038A4: D3D7009C 0E73A532
	buffer_load_dwordx4 a[184:187], v37, s[24:27], 0 offen offset:2048// 0000000038AC: E05C1800 8086B825
	v_mfma_i32_16x16x32_i8 v[156:159], a[52:53], v[212:213], v[156:159]// 0000000038B4: D3D7009C 0E73A934
	v_mfma_i32_16x16x32_i8 v[156:159], a[54:55], v[214:215], v[156:159]// 0000000038BC: D3D7009C 0E73AD36
	ds_read_b128 v[248:251], v2 offset:9472                    // 0000000038C4: D9FE2500 F8000002
	v_mfma_i32_16x16x32_i8 v[156:159], a[56:57], v[216:217], v[156:159]// 0000000038CC: D3D7009C 0E73B138
	v_mfma_i32_16x16x32_i8 v[156:159], a[58:59], v[218:219], v[156:159]// 0000000038D4: D3D7009C 0E73B53A
	buffer_load_dwordx4 a[188:191], v37, s[24:27], 0 offen offset:3072// 0000000038DC: E05C1C00 8086BC25
	v_mfma_i32_16x16x32_i8 v[156:159], a[60:61], v[220:221], v[156:159]// 0000000038E4: D3D7009C 0E73B93C
	v_mfma_i32_16x16x32_i8 v[156:159], a[62:63], v[222:223], v[156:159]// 0000000038EC: D3D7009C 0E73BD3E
	ds_read_b128 v[252:255], v2 offset:9536                    // 0000000038F4: D9FE2540 FC000002
	s_waitcnt vmcnt(32)                                        // 0000000038FC: BF8C8F70
	v_mfma_i32_16x16x32_i8 v[160:163], a[64:65], v[192:193], v[160:163]// 000000003900: D3D700A0 0E838140
	v_mfma_i32_16x16x32_i8 v[160:163], a[66:67], v[194:195], v[160:163]// 000000003908: D3D700A0 0E838542
	buffer_load_dwordx4 a[192:195], v38, s[24:27], 0 offen     // 000000003910: E05C1000 8086C026
	v_mfma_i32_16x16x32_i8 v[160:163], a[68:69], v[196:197], v[160:163]// 000000003918: D3D700A0 0E838944
	s_add_u32 s60, 0x300, s80                                  // 000000003920: 803C50FF 00000300
	s_cmp_lt_u32 s60, s81                                      // 000000003928: BF0A513C
	s_cselect_b32 s57, s57, 0                                  // 00000000392C: 85398039
	v_mfma_i32_16x16x32_i8 v[160:163], a[70:71], v[198:199], v[160:163]// 000000003930: D3D700A0 0E838D46
	v_mfma_i32_16x16x32_i8 v[160:163], a[72:73], v[200:201], v[160:163]// 000000003938: D3D700A0 0E839148
	v_mfma_i32_16x16x32_i8 v[160:163], a[74:75], v[202:203], v[160:163]// 000000003940: D3D700A0 0E83954A
	buffer_load_dwordx4 a[196:199], v38, s[24:27], 0 offen offset:1024// 000000003948: E05C1400 8086C426
	v_mfma_i32_16x16x32_i8 v[160:163], a[76:77], v[204:205], v[160:163]// 000000003950: D3D700A0 0E83994C
	s_add_u32 s60, 0x200, s80                                  // 000000003958: 803C50FF 00000200
	s_cmp_lt_u32 s60, s81                                      // 000000003960: BF0A513C
	s_cselect_b32 s58, s58, 0                                  // 000000003964: 853A803A
	v_mfma_i32_16x16x32_i8 v[160:163], a[78:79], v[206:207], v[160:163]// 000000003968: D3D700A0 0E839D4E
	v_mfma_i32_16x16x32_i8 v[164:167], a[64:65], v[208:209], v[164:167]// 000000003970: D3D700A4 0E93A140
	v_mfma_i32_16x16x32_i8 v[164:167], a[66:67], v[210:211], v[164:167]// 000000003978: D3D700A4 0E93A542
	buffer_load_dwordx4 a[200:203], v38, s[24:27], 0 offen offset:2048// 000000003980: E05C1800 8086C826
	v_mfma_i32_16x16x32_i8 v[164:167], a[68:69], v[212:213], v[164:167]// 000000003988: D3D700A4 0E93A944
	s_add_u32 s20, s57, s20                                    // 000000003990: 80141439
	s_addc_u32 s21, 0, s21                                     // 000000003994: 82151580
	v_mfma_i32_16x16x32_i8 v[164:167], a[70:71], v[214:215], v[164:167]// 000000003998: D3D700A4 0E93AD46
	v_mfma_i32_16x16x32_i8 v[164:167], a[72:73], v[216:217], v[164:167]// 0000000039A0: D3D700A4 0E93B148
	v_mfma_i32_16x16x32_i8 v[164:167], a[74:75], v[218:219], v[164:167]// 0000000039A8: D3D700A4 0E93B54A
	buffer_load_dwordx4 a[204:207], v38, s[24:27], 0 offen offset:3072// 0000000039B0: E05C1C00 8086CC26
	v_mfma_i32_16x16x32_i8 v[164:167], a[76:77], v[220:221], v[164:167]// 0000000039B8: D3D700A4 0E93B94C
	v_mfma_i32_16x16x32_i8 v[164:167], a[78:79], v[222:223], v[164:167]// 0000000039C0: D3D700A4 0E93BD4E
	v_mfma_i32_16x16x32_i8 v[168:171], a[80:81], v[192:193], v[168:171]// 0000000039C8: D3D700A8 0EA38150
	v_mfma_i32_16x16x32_i8 v[168:171], a[82:83], v[194:195], v[168:171]// 0000000039D0: D3D700A8 0EA38552
	buffer_load_dwordx4 a[208:211], v39, s[24:27], 0 offen     // 0000000039D8: E05C1000 8086D027
	v_mfma_i32_16x16x32_i8 v[168:171], a[84:85], v[196:197], v[168:171]// 0000000039E0: D3D700A8 0EA38954
	v_mfma_i32_16x16x32_i8 v[168:171], a[86:87], v[198:199], v[168:171]// 0000000039E8: D3D700A8 0EA38D56
	v_mfma_i32_16x16x32_i8 v[168:171], a[88:89], v[200:201], v[168:171]// 0000000039F0: D3D700A8 0EA39158
	v_mfma_i32_16x16x32_i8 v[168:171], a[90:91], v[202:203], v[168:171]// 0000000039F8: D3D700A8 0EA3955A
	buffer_load_dwordx4 a[212:215], v39, s[24:27], 0 offen offset:1024// 000000003A00: E05C1400 8086D427
	v_mfma_i32_16x16x32_i8 v[168:171], a[92:93], v[204:205], v[168:171]// 000000003A08: D3D700A8 0EA3995C
	v_mfma_i32_16x16x32_i8 v[168:171], a[94:95], v[206:207], v[168:171]// 000000003A10: D3D700A8 0EA39D5E
	v_mfma_i32_16x16x32_i8 v[172:175], a[80:81], v[208:209], v[172:175]// 000000003A18: D3D700AC 0EB3A150
	v_mfma_i32_16x16x32_i8 v[172:175], a[82:83], v[210:211], v[172:175]// 000000003A20: D3D700AC 0EB3A552
	buffer_load_dwordx4 a[216:219], v39, s[24:27], 0 offen offset:2048// 000000003A28: E05C1800 8086D827
	v_mfma_i32_16x16x32_i8 v[172:175], a[84:85], v[212:213], v[172:175]// 000000003A30: D3D700AC 0EB3A954
	v_mfma_i32_16x16x32_i8 v[172:175], a[86:87], v[214:215], v[172:175]// 000000003A38: D3D700AC 0EB3AD56
	v_mfma_i32_16x16x32_i8 v[172:175], a[88:89], v[216:217], v[172:175]// 000000003A40: D3D700AC 0EB3B158
	v_mfma_i32_16x16x32_i8 v[172:175], a[90:91], v[218:219], v[172:175]// 000000003A48: D3D700AC 0EB3B55A
	buffer_load_dwordx4 a[220:223], v39, s[24:27], 0 offen offset:3072// 000000003A50: E05C1C00 8086DC27
	v_mfma_i32_16x16x32_i8 v[172:175], a[92:93], v[220:221], v[172:175]// 000000003A58: D3D700AC 0EB3B95C
	v_mfma_i32_16x16x32_i8 v[172:175], a[94:95], v[222:223], v[172:175]// 000000003A60: D3D700AC 0EB3BD5E
	s_waitcnt vmcnt(32)                                        // 000000003A68: BF8C8F70
	v_mfma_i32_16x16x32_i8 v[176:179], a[96:97], v[192:193], v[176:179]// 000000003A6C: D3D700B0 0EC38160
	v_mfma_i32_16x16x32_i8 v[176:179], a[98:99], v[194:195], v[176:179]// 000000003A74: D3D700B0 0EC38562
	buffer_load_dwordx4 a[224:227], v40, s[24:27], 0 offen     // 000000003A7C: E05C1000 8086E028
	v_mfma_i32_16x16x32_i8 v[176:179], a[100:101], v[196:197], v[176:179]// 000000003A84: D3D700B0 0EC38964
	v_mfma_i32_16x16x32_i8 v[176:179], a[102:103], v[198:199], v[176:179]// 000000003A8C: D3D700B0 0EC38D66
	v_mfma_i32_16x16x32_i8 v[176:179], a[104:105], v[200:201], v[176:179]// 000000003A94: D3D700B0 0EC39168
	v_mfma_i32_16x16x32_i8 v[176:179], a[106:107], v[202:203], v[176:179]// 000000003A9C: D3D700B0 0EC3956A
	buffer_load_dwordx4 a[228:231], v40, s[24:27], 0 offen offset:1024// 000000003AA4: E05C1400 8086E428
	v_mfma_i32_16x16x32_i8 v[176:179], a[108:109], v[204:205], v[176:179]// 000000003AAC: D3D700B0 0EC3996C
	v_mfma_i32_16x16x32_i8 v[176:179], a[110:111], v[206:207], v[176:179]// 000000003AB4: D3D700B0 0EC39D6E
	v_mfma_i32_16x16x32_i8 v[180:183], a[96:97], v[208:209], v[180:183]// 000000003ABC: D3D700B4 0ED3A160
	v_mfma_i32_16x16x32_i8 v[180:183], a[98:99], v[210:211], v[180:183]// 000000003AC4: D3D700B4 0ED3A562
	buffer_load_dwordx4 a[232:235], v40, s[24:27], 0 offen offset:2048// 000000003ACC: E05C1800 8086E828
	v_mfma_i32_16x16x32_i8 v[180:183], a[100:101], v[212:213], v[180:183]// 000000003AD4: D3D700B4 0ED3A964
	v_mfma_i32_16x16x32_i8 v[180:183], a[102:103], v[214:215], v[180:183]// 000000003ADC: D3D700B4 0ED3AD66
	v_mfma_i32_16x16x32_i8 v[180:183], a[104:105], v[216:217], v[180:183]// 000000003AE4: D3D700B4 0ED3B168
	v_mfma_i32_16x16x32_i8 v[180:183], a[106:107], v[218:219], v[180:183]// 000000003AEC: D3D700B4 0ED3B56A
	buffer_load_dwordx4 a[236:239], v40, s[24:27], 0 offen offset:3072// 000000003AF4: E05C1C00 8086EC28
	v_mfma_i32_16x16x32_i8 v[180:183], a[108:109], v[220:221], v[180:183]// 000000003AFC: D3D700B4 0ED3B96C
	v_mfma_i32_16x16x32_i8 v[180:183], a[110:111], v[222:223], v[180:183]// 000000003B04: D3D700B4 0ED3BD6E
	v_mfma_i32_16x16x32_i8 v[184:187], a[112:113], v[192:193], v[184:187]// 000000003B0C: D3D700B8 0EE38170
	v_mfma_i32_16x16x32_i8 v[184:187], a[114:115], v[194:195], v[184:187]// 000000003B14: D3D700B8 0EE38572
	buffer_load_dwordx4 a[240:243], v41, s[24:27], 0 offen     // 000000003B1C: E05C1000 8086F029
	v_mfma_i32_16x16x32_i8 v[184:187], a[116:117], v[196:197], v[184:187]// 000000003B24: D3D700B8 0EE38974
	v_mfma_i32_16x16x32_i8 v[184:187], a[118:119], v[198:199], v[184:187]// 000000003B2C: D3D700B8 0EE38D76
	v_mfma_i32_16x16x32_i8 v[184:187], a[120:121], v[200:201], v[184:187]// 000000003B34: D3D700B8 0EE39178
	v_mfma_i32_16x16x32_i8 v[184:187], a[122:123], v[202:203], v[184:187]// 000000003B3C: D3D700B8 0EE3957A
	buffer_load_dwordx4 a[244:247], v41, s[24:27], 0 offen offset:1024// 000000003B44: E05C1400 8086F429
	v_mfma_i32_16x16x32_i8 v[184:187], a[124:125], v[204:205], v[184:187]// 000000003B4C: D3D700B8 0EE3997C
	v_mfma_i32_16x16x32_i8 v[184:187], a[126:127], v[206:207], v[184:187]// 000000003B54: D3D700B8 0EE39D7E
	v_mfma_i32_16x16x32_i8 v[188:191], a[112:113], v[208:209], v[188:191]// 000000003B5C: D3D700BC 0EF3A170
	v_mfma_i32_16x16x32_i8 v[188:191], a[114:115], v[210:211], v[188:191]// 000000003B64: D3D700BC 0EF3A572
	buffer_load_dwordx4 a[248:251], v41, s[24:27], 0 offen offset:2048// 000000003B6C: E05C1800 8086F829
	v_mfma_i32_16x16x32_i8 v[188:191], a[116:117], v[212:213], v[188:191]// 000000003B74: D3D700BC 0EF3A974
	v_mfma_i32_16x16x32_i8 v[188:191], a[118:119], v[214:215], v[188:191]// 000000003B7C: D3D700BC 0EF3AD76
	v_mfma_i32_16x16x32_i8 v[188:191], a[120:121], v[216:217], v[188:191]// 000000003B84: D3D700BC 0EF3B178
	v_mfma_i32_16x16x32_i8 v[188:191], a[122:123], v[218:219], v[188:191]// 000000003B8C: D3D700BC 0EF3B57A
	buffer_load_dwordx4 a[252:255], v41, s[24:27], 0 offen offset:3072// 000000003B94: E05C1C00 8086FC29
	v_mfma_i32_16x16x32_i8 v[188:191], a[124:125], v[220:221], v[188:191]// 000000003B9C: D3D700BC 0EF3B97C
	s_add_u32 s24, s58, s24                                    // 000000003BA4: 8018183A
	s_addc_u32 s25, 0, s25                                     // 000000003BA8: 82191980
	v_mfma_i32_16x16x32_i8 v[188:191], a[126:127], v[222:223], v[188:191]// 000000003BAC: D3D700BC 0EF3BD7E
	s_addk_i32 s80, 0x100                                      // 000000003BB4: B7500100
	s_cmp_lt_i32 s80, s81                                      // 000000003BB8: BF045150
	s_cbranch_scc0 label_05B4                                  // 000000003BBC: BF840184
	s_waitcnt vmcnt(24) lgkmcnt(0)                             // 000000003BC0: BF8C4078
	s_barrier                                                  // 000000003BC4: BF8A0000
	v_mfma_i32_16x16x32_i8 v[128:131], a[128:129], v[224:225], v[128:131]// 000000003BC8: D3D70080 0E03C180
	v_mfma_i32_16x16x32_i8 v[128:131], a[130:131], v[226:227], v[128:131]// 000000003BD0: D3D70080 0E03C582
	buffer_load_dwordx4 a[0:3], v34, s[24:27], 0 offen         // 000000003BD8: E05C1000 80860022
	v_mfma_i32_16x16x32_i8 v[128:131], a[132:133], v[228:229], v[128:131]// 000000003BE0: D3D70080 0E03C984
	v_mfma_i32_16x16x32_i8 v[128:131], a[134:135], v[230:231], v[128:131]// 000000003BE8: D3D70080 0E03CD86
	buffer_load_dword v26, s[20:23], 0 offen lds               // 000000003BF0: E0511000 8005001A
	s_add_u32 m0, 0x100, s51                                   // 000000003BF8: 807C33FF 00000100
	v_mfma_i32_16x16x32_i8 v[128:131], a[136:137], v[232:233], v[128:131]// 000000003C00: D3D70080 0E03D188
	v_mfma_i32_16x16x32_i8 v[128:131], a[138:139], v[234:235], v[128:131]// 000000003C08: D3D70080 0E03D58A
	buffer_load_dwordx4 a[4:7], v34, s[24:27], 0 offen offset:1024// 000000003C10: E05C1400 80860422
	v_mfma_i32_16x16x32_i8 v[128:131], a[140:141], v[236:237], v[128:131]// 000000003C18: D3D70080 0E03D98C
	v_mfma_i32_16x16x32_i8 v[128:131], a[142:143], v[238:239], v[128:131]// 000000003C20: D3D70080 0E03DD8E
	buffer_load_dword v27, s[20:23], 0 offen lds               // 000000003C28: E0511000 8005001B
	s_add_u32 m0, 0x200, s51                                   // 000000003C30: 807C33FF 00000200
	v_mfma_i32_16x16x32_i8 v[132:135], a[128:129], v[240:241], v[132:135]// 000000003C38: D3D70084 0E13E180
	v_mfma_i32_16x16x32_i8 v[132:135], a[130:131], v[242:243], v[132:135]// 000000003C40: D3D70084 0E13E582
	buffer_load_dwordx4 a[8:11], v34, s[24:27], 0 offen offset:2048// 000000003C48: E05C1800 80860822
	v_mfma_i32_16x16x32_i8 v[132:135], a[132:133], v[244:245], v[132:135]// 000000003C50: D3D70084 0E13E984
	v_mfma_i32_16x16x32_i8 v[132:135], a[134:135], v[246:247], v[132:135]// 000000003C58: D3D70084 0E13ED86
	buffer_load_dword v28, s[20:23], 0 offen lds               // 000000003C60: E0511000 8005001C
	s_add_u32 m0, 0x300, s51                                   // 000000003C68: 807C33FF 00000300
	v_mfma_i32_16x16x32_i8 v[132:135], a[136:137], v[248:249], v[132:135]// 000000003C70: D3D70084 0E13F188
	v_mfma_i32_16x16x32_i8 v[132:135], a[138:139], v[250:251], v[132:135]// 000000003C78: D3D70084 0E13F58A
	buffer_load_dwordx4 a[12:15], v34, s[24:27], 0 offen offset:3072// 000000003C80: E05C1C00 80860C22
	v_mfma_i32_16x16x32_i8 v[132:135], a[140:141], v[252:253], v[132:135]// 000000003C88: D3D70084 0E13F98C
	v_mfma_i32_16x16x32_i8 v[132:135], a[142:143], v[254:255], v[132:135]// 000000003C90: D3D70084 0E13FD8E
	buffer_load_dword v29, s[20:23], 0 offen lds               // 000000003C98: E0511000 8005001D
	s_add_u32 m0, 0x400, s51                                   // 000000003CA0: 807C33FF 00000400
	v_mfma_i32_16x16x32_i8 v[136:139], a[144:145], v[224:225], v[136:139]// 000000003CA8: D3D70088 0E23C190
	v_mfma_i32_16x16x32_i8 v[136:139], a[146:147], v[226:227], v[136:139]// 000000003CB0: D3D70088 0E23C592
	buffer_load_dwordx4 a[16:19], v35, s[24:27], 0 offen       // 000000003CB8: E05C1000 80861023
	v_mfma_i32_16x16x32_i8 v[136:139], a[148:149], v[228:229], v[136:139]// 000000003CC0: D3D70088 0E23C994
	v_mfma_i32_16x16x32_i8 v[136:139], a[150:151], v[230:231], v[136:139]// 000000003CC8: D3D70088 0E23CD96
	buffer_load_dword v30, s[20:23], 0 offen lds               // 000000003CD0: E0511000 8005001E
	s_add_u32 m0, 0x500, s51                                   // 000000003CD8: 807C33FF 00000500
	v_mfma_i32_16x16x32_i8 v[136:139], a[152:153], v[232:233], v[136:139]// 000000003CE0: D3D70088 0E23D198
	v_mfma_i32_16x16x32_i8 v[136:139], a[154:155], v[234:235], v[136:139]// 000000003CE8: D3D70088 0E23D59A
	buffer_load_dwordx4 a[20:23], v35, s[24:27], 0 offen offset:1024// 000000003CF0: E05C1400 80861423
	v_mfma_i32_16x16x32_i8 v[136:139], a[156:157], v[236:237], v[136:139]// 000000003CF8: D3D70088 0E23D99C
	v_mfma_i32_16x16x32_i8 v[136:139], a[158:159], v[238:239], v[136:139]// 000000003D00: D3D70088 0E23DD9E
	buffer_load_dword v31, s[20:23], 0 offen lds               // 000000003D08: E0511000 8005001F
	s_add_u32 m0, 0x600, s51                                   // 000000003D10: 807C33FF 00000600
	v_mfma_i32_16x16x32_i8 v[140:143], a[144:145], v[240:241], v[140:143]// 000000003D18: D3D7008C 0E33E190
	v_mfma_i32_16x16x32_i8 v[140:143], a[146:147], v[242:243], v[140:143]// 000000003D20: D3D7008C 0E33E592
	buffer_load_dwordx4 a[24:27], v35, s[24:27], 0 offen offset:2048// 000000003D28: E05C1800 80861823
	v_mfma_i32_16x16x32_i8 v[140:143], a[148:149], v[244:245], v[140:143]// 000000003D30: D3D7008C 0E33E994
	v_mfma_i32_16x16x32_i8 v[140:143], a[150:151], v[246:247], v[140:143]// 000000003D38: D3D7008C 0E33ED96
	buffer_load_dword v32, s[20:23], 0 offen lds               // 000000003D40: E0511000 80050020
	s_add_u32 m0, 0x700, s51                                   // 000000003D48: 807C33FF 00000700
	v_mfma_i32_16x16x32_i8 v[140:143], a[152:153], v[248:249], v[140:143]// 000000003D50: D3D7008C 0E33F198
	v_mfma_i32_16x16x32_i8 v[140:143], a[154:155], v[250:251], v[140:143]// 000000003D58: D3D7008C 0E33F59A
	buffer_load_dwordx4 a[28:31], v35, s[24:27], 0 offen offset:3072// 000000003D60: E05C1C00 80861C23
	v_mfma_i32_16x16x32_i8 v[140:143], a[156:157], v[252:253], v[140:143]// 000000003D68: D3D7008C 0E33F99C
	v_mfma_i32_16x16x32_i8 v[140:143], a[158:159], v[254:255], v[140:143]// 000000003D70: D3D7008C 0E33FD9E
	buffer_load_dword v33, s[20:23], 0 offen lds               // 000000003D78: E0511000 80050021
	s_add_u32 m0, 0, s50                                       // 000000003D80: 807C3280
	s_waitcnt vmcnt(32)                                        // 000000003D84: BF8C8F70
	v_mfma_i32_16x16x32_i8 v[144:147], a[160:161], v[224:225], v[144:147]// 000000003D88: D3D70090 0E43C1A0
	v_mfma_i32_16x16x32_i8 v[144:147], a[162:163], v[226:227], v[144:147]// 000000003D90: D3D70090 0E43C5A2
	buffer_load_dwordx4 a[32:35], v36, s[24:27], 0 offen       // 000000003D98: E05C1000 80862024
	v_mfma_i32_16x16x32_i8 v[144:147], a[164:165], v[228:229], v[144:147]// 000000003DA0: D3D70090 0E43C9A4
	v_mfma_i32_16x16x32_i8 v[144:147], a[166:167], v[230:231], v[144:147]// 000000003DA8: D3D70090 0E43CDA6
	ds_read_b128 v[192:195], v2                                // 000000003DB0: D9FE0000 C0000002
	v_mfma_i32_16x16x32_i8 v[144:147], a[168:169], v[232:233], v[144:147]// 000000003DB8: D3D70090 0E43D1A8
	v_mfma_i32_16x16x32_i8 v[144:147], a[170:171], v[234:235], v[144:147]// 000000003DC0: D3D70090 0E43D5AA
	buffer_load_dwordx4 a[36:39], v36, s[24:27], 0 offen offset:1024// 000000003DC8: E05C1400 80862424
	v_mfma_i32_16x16x32_i8 v[144:147], a[172:173], v[236:237], v[144:147]// 000000003DD0: D3D70090 0E43D9AC
	v_mfma_i32_16x16x32_i8 v[144:147], a[174:175], v[238:239], v[144:147]// 000000003DD8: D3D70090 0E43DDAE
	ds_read_b128 v[196:199], v2 offset:64                      // 000000003DE0: D9FE0040 C4000002
	v_mfma_i32_16x16x32_i8 v[148:151], a[160:161], v[240:241], v[148:151]// 000000003DE8: D3D70094 0E53E1A0
	v_mfma_i32_16x16x32_i8 v[148:151], a[162:163], v[242:243], v[148:151]// 000000003DF0: D3D70094 0E53E5A2
	buffer_load_dwordx4 a[40:43], v36, s[24:27], 0 offen offset:2048// 000000003DF8: E05C1800 80862824
	v_mfma_i32_16x16x32_i8 v[148:151], a[164:165], v[244:245], v[148:151]// 000000003E00: D3D70094 0E53E9A4
	v_mfma_i32_16x16x32_i8 v[148:151], a[166:167], v[246:247], v[148:151]// 000000003E08: D3D70094 0E53EDA6
	ds_read_b128 v[200:203], v2 offset:128                     // 000000003E10: D9FE0080 C8000002
	v_mfma_i32_16x16x32_i8 v[148:151], a[168:169], v[248:249], v[148:151]// 000000003E18: D3D70094 0E53F1A8
	v_mfma_i32_16x16x32_i8 v[148:151], a[170:171], v[250:251], v[148:151]// 000000003E20: D3D70094 0E53F5AA
	buffer_load_dwordx4 a[44:47], v36, s[24:27], 0 offen offset:3072// 000000003E28: E05C1C00 80862C24
	v_mfma_i32_16x16x32_i8 v[148:151], a[172:173], v[252:253], v[148:151]// 000000003E30: D3D70094 0E53F9AC
	v_mfma_i32_16x16x32_i8 v[148:151], a[174:175], v[254:255], v[148:151]// 000000003E38: D3D70094 0E53FDAE
	ds_read_b128 v[204:207], v2 offset:192                     // 000000003E40: D9FE00C0 CC000002
	v_mfma_i32_16x16x32_i8 v[152:155], a[176:177], v[224:225], v[152:155]// 000000003E48: D3D70098 0E63C1B0
	v_mfma_i32_16x16x32_i8 v[152:155], a[178:179], v[226:227], v[152:155]// 000000003E50: D3D70098 0E63C5B2
	buffer_load_dwordx4 a[48:51], v37, s[24:27], 0 offen       // 000000003E58: E05C1000 80863025
	v_mfma_i32_16x16x32_i8 v[152:155], a[180:181], v[228:229], v[152:155]// 000000003E60: D3D70098 0E63C9B4
	v_mfma_i32_16x16x32_i8 v[152:155], a[182:183], v[230:231], v[152:155]// 000000003E68: D3D70098 0E63CDB6
	ds_read_b128 v[208:211], v2 offset:1024                    // 000000003E70: D9FE0400 D0000002
	v_mfma_i32_16x16x32_i8 v[152:155], a[184:185], v[232:233], v[152:155]// 000000003E78: D3D70098 0E63D1B8
	v_mfma_i32_16x16x32_i8 v[152:155], a[186:187], v[234:235], v[152:155]// 000000003E80: D3D70098 0E63D5BA
	buffer_load_dwordx4 a[52:55], v37, s[24:27], 0 offen offset:1024// 000000003E88: E05C1400 80863425
	v_mfma_i32_16x16x32_i8 v[152:155], a[188:189], v[236:237], v[152:155]// 000000003E90: D3D70098 0E63D9BC
	v_mfma_i32_16x16x32_i8 v[152:155], a[190:191], v[238:239], v[152:155]// 000000003E98: D3D70098 0E63DDBE
	ds_read_b128 v[212:215], v2 offset:1088                    // 000000003EA0: D9FE0440 D4000002
	v_mfma_i32_16x16x32_i8 v[156:159], a[176:177], v[240:241], v[156:159]// 000000003EA8: D3D7009C 0E73E1B0
	v_mfma_i32_16x16x32_i8 v[156:159], a[178:179], v[242:243], v[156:159]// 000000003EB0: D3D7009C 0E73E5B2
	buffer_load_dwordx4 a[56:59], v37, s[24:27], 0 offen offset:2048// 000000003EB8: E05C1800 80863825
	v_mfma_i32_16x16x32_i8 v[156:159], a[180:181], v[244:245], v[156:159]// 000000003EC0: D3D7009C 0E73E9B4
	v_mfma_i32_16x16x32_i8 v[156:159], a[182:183], v[246:247], v[156:159]// 000000003EC8: D3D7009C 0E73EDB6
	ds_read_b128 v[216:219], v2 offset:1152                    // 000000003ED0: D9FE0480 D8000002
	v_mfma_i32_16x16x32_i8 v[156:159], a[184:185], v[248:249], v[156:159]// 000000003ED8: D3D7009C 0E73F1B8
	v_mfma_i32_16x16x32_i8 v[156:159], a[186:187], v[250:251], v[156:159]// 000000003EE0: D3D7009C 0E73F5BA
	buffer_load_dwordx4 a[60:63], v37, s[24:27], 0 offen offset:3072// 000000003EE8: E05C1C00 80863C25
	v_mfma_i32_16x16x32_i8 v[156:159], a[188:189], v[252:253], v[156:159]// 000000003EF0: D3D7009C 0E73F9BC
	v_mfma_i32_16x16x32_i8 v[156:159], a[190:191], v[254:255], v[156:159]// 000000003EF8: D3D7009C 0E73FDBE
	ds_read_b128 v[220:223], v2 offset:1216                    // 000000003F00: D9FE04C0 DC000002
	s_waitcnt vmcnt(32)                                        // 000000003F08: BF8C8F70
	v_mfma_i32_16x16x32_i8 v[160:163], a[192:193], v[224:225], v[160:163]// 000000003F0C: D3D700A0 0E83C1C0
	v_mfma_i32_16x16x32_i8 v[160:163], a[194:195], v[226:227], v[160:163]// 000000003F14: D3D700A0 0E83C5C2
	buffer_load_dwordx4 a[64:67], v38, s[24:27], 0 offen       // 000000003F1C: E05C1000 80864026
	v_mfma_i32_16x16x32_i8 v[160:163], a[196:197], v[228:229], v[160:163]// 000000003F24: D3D700A0 0E83C9C4
	s_add_u32 s60, 0x300, s80                                  // 000000003F2C: 803C50FF 00000300
	s_cmp_lt_u32 s60, s81                                      // 000000003F34: BF0A513C
	s_cselect_b32 s57, s57, 0                                  // 000000003F38: 85398039
	v_mfma_i32_16x16x32_i8 v[160:163], a[198:199], v[230:231], v[160:163]// 000000003F3C: D3D700A0 0E83CDC6
	v_mfma_i32_16x16x32_i8 v[160:163], a[200:201], v[232:233], v[160:163]// 000000003F44: D3D700A0 0E83D1C8
	v_mfma_i32_16x16x32_i8 v[160:163], a[202:203], v[234:235], v[160:163]// 000000003F4C: D3D700A0 0E83D5CA
	buffer_load_dwordx4 a[68:71], v38, s[24:27], 0 offen offset:1024// 000000003F54: E05C1400 80864426
	v_mfma_i32_16x16x32_i8 v[160:163], a[204:205], v[236:237], v[160:163]// 000000003F5C: D3D700A0 0E83D9CC
	s_add_u32 s60, 0x200, s80                                  // 000000003F64: 803C50FF 00000200
	s_cmp_lt_u32 s60, s81                                      // 000000003F6C: BF0A513C
	s_cselect_b32 s58, s58, 0                                  // 000000003F70: 853A803A
	v_mfma_i32_16x16x32_i8 v[160:163], a[206:207], v[238:239], v[160:163]// 000000003F74: D3D700A0 0E83DDCE
	v_mfma_i32_16x16x32_i8 v[164:167], a[192:193], v[240:241], v[164:167]// 000000003F7C: D3D700A4 0E93E1C0
	v_mfma_i32_16x16x32_i8 v[164:167], a[194:195], v[242:243], v[164:167]// 000000003F84: D3D700A4 0E93E5C2
	buffer_load_dwordx4 a[72:75], v38, s[24:27], 0 offen offset:2048// 000000003F8C: E05C1800 80864826
	v_mfma_i32_16x16x32_i8 v[164:167], a[196:197], v[244:245], v[164:167]// 000000003F94: D3D700A4 0E93E9C4
	s_add_u32 s20, s57, s20                                    // 000000003F9C: 80141439
	s_addc_u32 s21, 0, s21                                     // 000000003FA0: 82151580
	v_mfma_i32_16x16x32_i8 v[164:167], a[198:199], v[246:247], v[164:167]// 000000003FA4: D3D700A4 0E93EDC6
	v_mfma_i32_16x16x32_i8 v[164:167], a[200:201], v[248:249], v[164:167]// 000000003FAC: D3D700A4 0E93F1C8
	v_mfma_i32_16x16x32_i8 v[164:167], a[202:203], v[250:251], v[164:167]// 000000003FB4: D3D700A4 0E93F5CA
	buffer_load_dwordx4 a[76:79], v38, s[24:27], 0 offen offset:3072// 000000003FBC: E05C1C00 80864C26
	v_mfma_i32_16x16x32_i8 v[164:167], a[204:205], v[252:253], v[164:167]// 000000003FC4: D3D700A4 0E93F9CC
	v_mfma_i32_16x16x32_i8 v[164:167], a[206:207], v[254:255], v[164:167]// 000000003FCC: D3D700A4 0E93FDCE
	v_mfma_i32_16x16x32_i8 v[168:171], a[208:209], v[224:225], v[168:171]// 000000003FD4: D3D700A8 0EA3C1D0
	v_mfma_i32_16x16x32_i8 v[168:171], a[210:211], v[226:227], v[168:171]// 000000003FDC: D3D700A8 0EA3C5D2
	buffer_load_dwordx4 a[80:83], v39, s[24:27], 0 offen       // 000000003FE4: E05C1000 80865027
	v_mfma_i32_16x16x32_i8 v[168:171], a[212:213], v[228:229], v[168:171]// 000000003FEC: D3D700A8 0EA3C9D4
	v_mfma_i32_16x16x32_i8 v[168:171], a[214:215], v[230:231], v[168:171]// 000000003FF4: D3D700A8 0EA3CDD6
	v_mfma_i32_16x16x32_i8 v[168:171], a[216:217], v[232:233], v[168:171]// 000000003FFC: D3D700A8 0EA3D1D8
	v_mfma_i32_16x16x32_i8 v[168:171], a[218:219], v[234:235], v[168:171]// 000000004004: D3D700A8 0EA3D5DA
	buffer_load_dwordx4 a[84:87], v39, s[24:27], 0 offen offset:1024// 00000000400C: E05C1400 80865427
	v_mfma_i32_16x16x32_i8 v[168:171], a[220:221], v[236:237], v[168:171]// 000000004014: D3D700A8 0EA3D9DC
	v_mfma_i32_16x16x32_i8 v[168:171], a[222:223], v[238:239], v[168:171]// 00000000401C: D3D700A8 0EA3DDDE
	v_mfma_i32_16x16x32_i8 v[172:175], a[208:209], v[240:241], v[172:175]// 000000004024: D3D700AC 0EB3E1D0
	v_mfma_i32_16x16x32_i8 v[172:175], a[210:211], v[242:243], v[172:175]// 00000000402C: D3D700AC 0EB3E5D2
	buffer_load_dwordx4 a[88:91], v39, s[24:27], 0 offen offset:2048// 000000004034: E05C1800 80865827
	v_mfma_i32_16x16x32_i8 v[172:175], a[212:213], v[244:245], v[172:175]// 00000000403C: D3D700AC 0EB3E9D4
	v_mfma_i32_16x16x32_i8 v[172:175], a[214:215], v[246:247], v[172:175]// 000000004044: D3D700AC 0EB3EDD6
	v_mfma_i32_16x16x32_i8 v[172:175], a[216:217], v[248:249], v[172:175]// 00000000404C: D3D700AC 0EB3F1D8
	v_mfma_i32_16x16x32_i8 v[172:175], a[218:219], v[250:251], v[172:175]// 000000004054: D3D700AC 0EB3F5DA
	buffer_load_dwordx4 a[92:95], v39, s[24:27], 0 offen offset:3072// 00000000405C: E05C1C00 80865C27
	v_mfma_i32_16x16x32_i8 v[172:175], a[220:221], v[252:253], v[172:175]// 000000004064: D3D700AC 0EB3F9DC
	v_mfma_i32_16x16x32_i8 v[172:175], a[222:223], v[254:255], v[172:175]// 00000000406C: D3D700AC 0EB3FDDE
	s_waitcnt vmcnt(32)                                        // 000000004074: BF8C8F70
	v_mfma_i32_16x16x32_i8 v[176:179], a[224:225], v[224:225], v[176:179]// 000000004078: D3D700B0 0EC3C1E0
	v_mfma_i32_16x16x32_i8 v[176:179], a[226:227], v[226:227], v[176:179]// 000000004080: D3D700B0 0EC3C5E2
	buffer_load_dwordx4 a[96:99], v40, s[24:27], 0 offen       // 000000004088: E05C1000 80866028
	v_mfma_i32_16x16x32_i8 v[176:179], a[228:229], v[228:229], v[176:179]// 000000004090: D3D700B0 0EC3C9E4
	v_mfma_i32_16x16x32_i8 v[176:179], a[230:231], v[230:231], v[176:179]// 000000004098: D3D700B0 0EC3CDE6
	v_mfma_i32_16x16x32_i8 v[176:179], a[232:233], v[232:233], v[176:179]// 0000000040A0: D3D700B0 0EC3D1E8
	v_mfma_i32_16x16x32_i8 v[176:179], a[234:235], v[234:235], v[176:179]// 0000000040A8: D3D700B0 0EC3D5EA
	buffer_load_dwordx4 a[100:103], v40, s[24:27], 0 offen offset:1024// 0000000040B0: E05C1400 80866428
	v_mfma_i32_16x16x32_i8 v[176:179], a[236:237], v[236:237], v[176:179]// 0000000040B8: D3D700B0 0EC3D9EC
	v_mfma_i32_16x16x32_i8 v[176:179], a[238:239], v[238:239], v[176:179]// 0000000040C0: D3D700B0 0EC3DDEE
	v_mfma_i32_16x16x32_i8 v[180:183], a[224:225], v[240:241], v[180:183]// 0000000040C8: D3D700B4 0ED3E1E0
	v_mfma_i32_16x16x32_i8 v[180:183], a[226:227], v[242:243], v[180:183]// 0000000040D0: D3D700B4 0ED3E5E2
	buffer_load_dwordx4 a[104:107], v40, s[24:27], 0 offen offset:2048// 0000000040D8: E05C1800 80866828
	v_mfma_i32_16x16x32_i8 v[180:183], a[228:229], v[244:245], v[180:183]// 0000000040E0: D3D700B4 0ED3E9E4
	v_mfma_i32_16x16x32_i8 v[180:183], a[230:231], v[246:247], v[180:183]// 0000000040E8: D3D700B4 0ED3EDE6
	v_mfma_i32_16x16x32_i8 v[180:183], a[232:233], v[248:249], v[180:183]// 0000000040F0: D3D700B4 0ED3F1E8
	v_mfma_i32_16x16x32_i8 v[180:183], a[234:235], v[250:251], v[180:183]// 0000000040F8: D3D700B4 0ED3F5EA
	buffer_load_dwordx4 a[108:111], v40, s[24:27], 0 offen offset:3072// 000000004100: E05C1C00 80866C28
	v_mfma_i32_16x16x32_i8 v[180:183], a[236:237], v[252:253], v[180:183]// 000000004108: D3D700B4 0ED3F9EC
	v_mfma_i32_16x16x32_i8 v[180:183], a[238:239], v[254:255], v[180:183]// 000000004110: D3D700B4 0ED3FDEE
	v_mfma_i32_16x16x32_i8 v[184:187], a[240:241], v[224:225], v[184:187]// 000000004118: D3D700B8 0EE3C1F0
	v_mfma_i32_16x16x32_i8 v[184:187], a[242:243], v[226:227], v[184:187]// 000000004120: D3D700B8 0EE3C5F2
	buffer_load_dwordx4 a[112:115], v41, s[24:27], 0 offen     // 000000004128: E05C1000 80867029
	v_mfma_i32_16x16x32_i8 v[184:187], a[244:245], v[228:229], v[184:187]// 000000004130: D3D700B8 0EE3C9F4
	v_mfma_i32_16x16x32_i8 v[184:187], a[246:247], v[230:231], v[184:187]// 000000004138: D3D700B8 0EE3CDF6
	v_mfma_i32_16x16x32_i8 v[184:187], a[248:249], v[232:233], v[184:187]// 000000004140: D3D700B8 0EE3D1F8
	v_mfma_i32_16x16x32_i8 v[184:187], a[250:251], v[234:235], v[184:187]// 000000004148: D3D700B8 0EE3D5FA
	buffer_load_dwordx4 a[116:119], v41, s[24:27], 0 offen offset:1024// 000000004150: E05C1400 80867429
	v_mfma_i32_16x16x32_i8 v[184:187], a[252:253], v[236:237], v[184:187]// 000000004158: D3D700B8 0EE3D9FC
	v_mfma_i32_16x16x32_i8 v[184:187], a[254:255], v[238:239], v[184:187]// 000000004160: D3D700B8 0EE3DDFE
	v_mfma_i32_16x16x32_i8 v[188:191], a[240:241], v[240:241], v[188:191]// 000000004168: D3D700BC 0EF3E1F0
	v_mfma_i32_16x16x32_i8 v[188:191], a[242:243], v[242:243], v[188:191]// 000000004170: D3D700BC 0EF3E5F2
	buffer_load_dwordx4 a[120:123], v41, s[24:27], 0 offen offset:2048// 000000004178: E05C1800 80867829
	v_mfma_i32_16x16x32_i8 v[188:191], a[244:245], v[244:245], v[188:191]// 000000004180: D3D700BC 0EF3E9F4
	v_mfma_i32_16x16x32_i8 v[188:191], a[246:247], v[246:247], v[188:191]// 000000004188: D3D700BC 0EF3EDF6
	v_mfma_i32_16x16x32_i8 v[188:191], a[248:249], v[248:249], v[188:191]// 000000004190: D3D700BC 0EF3F1F8
	v_mfma_i32_16x16x32_i8 v[188:191], a[250:251], v[250:251], v[188:191]// 000000004198: D3D700BC 0EF3F5FA
	buffer_load_dwordx4 a[124:127], v41, s[24:27], 0 offen offset:3072// 0000000041A0: E05C1C00 80867C29
	v_mfma_i32_16x16x32_i8 v[188:191], a[252:253], v[252:253], v[188:191]// 0000000041A8: D3D700BC 0EF3F9FC
	s_add_u32 s24, s58, s24                                    // 0000000041B0: 8018183A
	s_addc_u32 s25, 0, s25                                     // 0000000041B4: 82191980
	v_mfma_i32_16x16x32_i8 v[188:191], a[254:255], v[254:255], v[188:191]// 0000000041B8: D3D700BC 0EF3FDFE
	s_addk_i32 s80, 0x100                                      // 0000000041C0: B7500100
	s_cmp_lt_i32 s80, s81                                      // 0000000041C4: BF045150
	s_cbranch_scc0 label_05B4                                  // 0000000041C8: BF840001
	s_branch label_02AD                                        // 0000000041CC: BF82FCF9

00000000000041d0 <label_05B4>:
	s_mov_b32 s20, 0                                           // 0000000041D0: BE940080
	s_cmp_lt_u32 s91, s66                                      // 0000000041D4: BF0A425B
	s_cselect_b32 s60, 0, 1                                    // 0000000041D8: 853C8180
	s_lshl1_add_u32 s20, s20, s60                              // 0000000041DC: 97143C14
	s_cmp_lt_u32 s90, s66                                      // 0000000041E0: BF0A425A
	s_cselect_b32 s60, 0, 1                                    // 0000000041E4: 853C8180
	s_lshl1_add_u32 s20, s20, s60                              // 0000000041E8: 97143C14
	s_cmp_lt_u32 s89, s66                                      // 0000000041EC: BF0A4259
	s_cselect_b32 s60, 0, 1                                    // 0000000041F0: 853C8180
	s_lshl1_add_u32 s20, s20, s60                              // 0000000041F4: 97143C14
	s_cmp_lt_u32 s88, s66                                      // 0000000041F8: BF0A4258
	s_cselect_b32 s60, 0, 1                                    // 0000000041FC: 853C8180
	s_lshl1_add_u32 s20, s20, s60                              // 000000004200: 97143C14
	s_cmp_lt_u32 s87, s66                                      // 000000004204: BF0A4257
	s_cselect_b32 s60, 0, 1                                    // 000000004208: 853C8180
	s_lshl1_add_u32 s20, s20, s60                              // 00000000420C: 97143C14
	s_cmp_lt_u32 s86, s66                                      // 000000004210: BF0A4256
	s_cselect_b32 s60, 0, 1                                    // 000000004214: 853C8180
	s_lshl1_add_u32 s20, s20, s60                              // 000000004218: 97143C14
	s_cmp_lt_u32 s85, s66                                      // 00000000421C: BF0A4255
	s_cselect_b32 s60, 0, 1                                    // 000000004220: 853C8180
	s_lshl1_add_u32 s20, s20, s60                              // 000000004224: 97143C14
	s_cmp_lt_u32 s84, s66                                      // 000000004228: BF0A4254
	s_cselect_b32 s60, 0, 1                                    // 00000000422C: 853C8180
	s_lshl1_add_u32 s20, s20, s60                              // 000000004230: 97143C14
	v_cvt_f32_i32_e32 v128, v128                               // 000000004234: 7F000B80
	v_cvt_f32_i32_e32 v129, v129                               // 000000004238: 7F020B81
	v_cvt_f32_i32_e32 v130, v130                               // 00000000423C: 7F040B82
	v_cvt_f32_i32_e32 v131, v131                               // 000000004240: 7F060B83
	v_mul_f32_e32 v128, v14, v128                              // 000000004244: 0B01010E
	v_mul_f32_e32 v129, v14, v129                              // 000000004248: 0B03030E
	v_mul_f32_e32 v130, v14, v130                              // 00000000424C: 0B05050E
	v_mul_f32_e32 v131, v14, v131                              // 000000004250: 0B07070E
	v_mul_f32_dpp v128, v16, v128 row_newbcast:0 row_mask:0xf bank_mask:0xf// 000000004254: 0B0100FA FF015010
	v_mul_f32_dpp v129, v16, v129 row_newbcast:1 row_mask:0xf bank_mask:0xf// 00000000425C: 0B0302FA FF015110
	v_mul_f32_dpp v130, v16, v130 row_newbcast:2 row_mask:0xf bank_mask:0xf// 000000004264: 0B0504FA FF015210
	v_mul_f32_dpp v131, v16, v131 row_newbcast:3 row_mask:0xf bank_mask:0xf// 00000000426C: 0B0706FA FF015310
	v_cvt_f32_i32_e32 v132, v132                               // 000000004274: 7F080B84
	v_cvt_f32_i32_e32 v133, v133                               // 000000004278: 7F0A0B85
	v_cvt_f32_i32_e32 v134, v134                               // 00000000427C: 7F0C0B86
	v_cvt_f32_i32_e32 v135, v135                               // 000000004280: 7F0E0B87
	v_mul_f32_e32 v132, v15, v132                              // 000000004284: 0B09090F
	v_mul_f32_e32 v133, v15, v133                              // 000000004288: 0B0B0B0F
	v_mul_f32_e32 v134, v15, v134                              // 00000000428C: 0B0D0D0F
	v_mul_f32_e32 v135, v15, v135                              // 000000004290: 0B0F0F0F
	v_mul_f32_dpp v132, v16, v132 row_newbcast:0 row_mask:0xf bank_mask:0xf// 000000004294: 0B0908FA FF015010
	v_mul_f32_dpp v133, v16, v133 row_newbcast:1 row_mask:0xf bank_mask:0xf// 00000000429C: 0B0B0AFA FF015110
	v_mul_f32_dpp v134, v16, v134 row_newbcast:2 row_mask:0xf bank_mask:0xf// 0000000042A4: 0B0D0CFA FF015210
	v_mul_f32_dpp v135, v16, v135 row_newbcast:3 row_mask:0xf bank_mask:0xf// 0000000042AC: 0B0F0EFA FF015310
	v_cvt_f32_i32_e32 v136, v136                               // 0000000042B4: 7F100B88
	v_cvt_f32_i32_e32 v137, v137                               // 0000000042B8: 7F120B89
	v_cvt_f32_i32_e32 v138, v138                               // 0000000042BC: 7F140B8A
	v_cvt_f32_i32_e32 v139, v139                               // 0000000042C0: 7F160B8B
	v_mul_f32_e32 v136, v14, v136                              // 0000000042C4: 0B11110E
	v_mul_f32_e32 v137, v14, v137                              // 0000000042C8: 0B13130E
	v_mul_f32_e32 v138, v14, v138                              // 0000000042CC: 0B15150E
	v_mul_f32_e32 v139, v14, v139                              // 0000000042D0: 0B17170E
	v_mul_f32_dpp v136, v16, v136 row_newbcast:4 row_mask:0xf bank_mask:0xf// 0000000042D4: 0B1110FA FF015410
	v_mul_f32_dpp v137, v16, v137 row_newbcast:5 row_mask:0xf bank_mask:0xf// 0000000042DC: 0B1312FA FF015510
	v_mul_f32_dpp v138, v16, v138 row_newbcast:6 row_mask:0xf bank_mask:0xf// 0000000042E4: 0B1514FA FF015610
	v_mul_f32_dpp v139, v16, v139 row_newbcast:7 row_mask:0xf bank_mask:0xf// 0000000042EC: 0B1716FA FF015710
	v_cvt_f32_i32_e32 v140, v140                               // 0000000042F4: 7F180B8C
	v_cvt_f32_i32_e32 v141, v141                               // 0000000042F8: 7F1A0B8D
	v_cvt_f32_i32_e32 v142, v142                               // 0000000042FC: 7F1C0B8E
	v_cvt_f32_i32_e32 v143, v143                               // 000000004300: 7F1E0B8F
	v_mul_f32_e32 v140, v15, v140                              // 000000004304: 0B19190F
	v_mul_f32_e32 v141, v15, v141                              // 000000004308: 0B1B1B0F
	v_mul_f32_e32 v142, v15, v142                              // 00000000430C: 0B1D1D0F
	v_mul_f32_e32 v143, v15, v143                              // 000000004310: 0B1F1F0F
	v_mul_f32_dpp v140, v16, v140 row_newbcast:4 row_mask:0xf bank_mask:0xf// 000000004314: 0B1918FA FF015410
	v_mul_f32_dpp v141, v16, v141 row_newbcast:5 row_mask:0xf bank_mask:0xf// 00000000431C: 0B1B1AFA FF015510
	v_mul_f32_dpp v142, v16, v142 row_newbcast:6 row_mask:0xf bank_mask:0xf// 000000004324: 0B1D1CFA FF015610
	v_mul_f32_dpp v143, v16, v143 row_newbcast:7 row_mask:0xf bank_mask:0xf// 00000000432C: 0B1F1EFA FF015710
	v_cvt_f32_i32_e32 v144, v144                               // 000000004334: 7F200B90
	v_cvt_f32_i32_e32 v145, v145                               // 000000004338: 7F220B91
	v_cvt_f32_i32_e32 v146, v146                               // 00000000433C: 7F240B92
	v_cvt_f32_i32_e32 v147, v147                               // 000000004340: 7F260B93
	v_mul_f32_e32 v144, v14, v144                              // 000000004344: 0B21210E
	v_mul_f32_e32 v145, v14, v145                              // 000000004348: 0B23230E
	v_mul_f32_e32 v146, v14, v146                              // 00000000434C: 0B25250E
	v_mul_f32_e32 v147, v14, v147                              // 000000004350: 0B27270E
	v_mul_f32_dpp v144, v16, v144 row_newbcast:8 row_mask:0xf bank_mask:0xf// 000000004354: 0B2120FA FF015810
	v_mul_f32_dpp v145, v16, v145 row_newbcast:9 row_mask:0xf bank_mask:0xf// 00000000435C: 0B2322FA FF015910
	v_mul_f32_dpp v146, v16, v146 row_newbcast:10 row_mask:0xf bank_mask:0xf// 000000004364: 0B2524FA FF015A10
	v_mul_f32_dpp v147, v16, v147 row_newbcast:11 row_mask:0xf bank_mask:0xf// 00000000436C: 0B2726FA FF015B10
	v_cvt_f32_i32_e32 v148, v148                               // 000000004374: 7F280B94
	v_cvt_f32_i32_e32 v149, v149                               // 000000004378: 7F2A0B95
	v_cvt_f32_i32_e32 v150, v150                               // 00000000437C: 7F2C0B96
	v_cvt_f32_i32_e32 v151, v151                               // 000000004380: 7F2E0B97
	v_mul_f32_e32 v148, v15, v148                              // 000000004384: 0B29290F
	v_mul_f32_e32 v149, v15, v149                              // 000000004388: 0B2B2B0F
	v_mul_f32_e32 v150, v15, v150                              // 00000000438C: 0B2D2D0F
	v_mul_f32_e32 v151, v15, v151                              // 000000004390: 0B2F2F0F
	v_mul_f32_dpp v148, v16, v148 row_newbcast:8 row_mask:0xf bank_mask:0xf// 000000004394: 0B2928FA FF015810
	v_mul_f32_dpp v149, v16, v149 row_newbcast:9 row_mask:0xf bank_mask:0xf// 00000000439C: 0B2B2AFA FF015910
	v_mul_f32_dpp v150, v16, v150 row_newbcast:10 row_mask:0xf bank_mask:0xf// 0000000043A4: 0B2D2CFA FF015A10
	v_mul_f32_dpp v151, v16, v151 row_newbcast:11 row_mask:0xf bank_mask:0xf// 0000000043AC: 0B2F2EFA FF015B10
	v_cvt_f32_i32_e32 v152, v152                               // 0000000043B4: 7F300B98
	v_cvt_f32_i32_e32 v153, v153                               // 0000000043B8: 7F320B99
	v_cvt_f32_i32_e32 v154, v154                               // 0000000043BC: 7F340B9A
	v_cvt_f32_i32_e32 v155, v155                               // 0000000043C0: 7F360B9B
	v_mul_f32_e32 v152, v14, v152                              // 0000000043C4: 0B31310E
	v_mul_f32_e32 v153, v14, v153                              // 0000000043C8: 0B33330E
	v_mul_f32_e32 v154, v14, v154                              // 0000000043CC: 0B35350E
	v_mul_f32_e32 v155, v14, v155                              // 0000000043D0: 0B37370E
	v_mul_f32_dpp v152, v16, v152 row_newbcast:12 row_mask:0xf bank_mask:0xf// 0000000043D4: 0B3130FA FF015C10
	v_mul_f32_dpp v153, v16, v153 row_newbcast:13 row_mask:0xf bank_mask:0xf// 0000000043DC: 0B3332FA FF015D10
	v_mul_f32_dpp v154, v16, v154 row_newbcast:14 row_mask:0xf bank_mask:0xf// 0000000043E4: 0B3534FA FF015E10
	v_mul_f32_dpp v155, v16, v155 row_newbcast:15 row_mask:0xf bank_mask:0xf// 0000000043EC: 0B3736FA FF015F10
	v_cvt_f32_i32_e32 v156, v156                               // 0000000043F4: 7F380B9C
	v_cvt_f32_i32_e32 v157, v157                               // 0000000043F8: 7F3A0B9D
	v_cvt_f32_i32_e32 v158, v158                               // 0000000043FC: 7F3C0B9E
	v_cvt_f32_i32_e32 v159, v159                               // 000000004400: 7F3E0B9F
	v_mul_f32_e32 v156, v15, v156                              // 000000004404: 0B39390F
	v_mul_f32_e32 v157, v15, v157                              // 000000004408: 0B3B3B0F
	v_mul_f32_e32 v158, v15, v158                              // 00000000440C: 0B3D3D0F
	v_mul_f32_e32 v159, v15, v159                              // 000000004410: 0B3F3F0F
	v_mul_f32_dpp v156, v16, v156 row_newbcast:12 row_mask:0xf bank_mask:0xf// 000000004414: 0B3938FA FF015C10
	v_mul_f32_dpp v157, v16, v157 row_newbcast:13 row_mask:0xf bank_mask:0xf// 00000000441C: 0B3B3AFA FF015D10
	v_mul_f32_dpp v158, v16, v158 row_newbcast:14 row_mask:0xf bank_mask:0xf// 000000004424: 0B3D3CFA FF015E10
	v_mul_f32_dpp v159, v16, v159 row_newbcast:15 row_mask:0xf bank_mask:0xf// 00000000442C: 0B3F3EFA FF015F10
	v_cvt_f32_i32_e32 v160, v160                               // 000000004434: 7F400BA0
	v_cvt_f32_i32_e32 v161, v161                               // 000000004438: 7F420BA1
	v_cvt_f32_i32_e32 v162, v162                               // 00000000443C: 7F440BA2
	v_cvt_f32_i32_e32 v163, v163                               // 000000004440: 7F460BA3
	v_mul_f32_e32 v160, v14, v160                              // 000000004444: 0B41410E
	v_mul_f32_e32 v161, v14, v161                              // 000000004448: 0B43430E
	v_mul_f32_e32 v162, v14, v162                              // 00000000444C: 0B45450E
	v_mul_f32_e32 v163, v14, v163                              // 000000004450: 0B47470E
	v_mul_f32_dpp v160, v17, v160 row_newbcast:0 row_mask:0xf bank_mask:0xf// 000000004454: 0B4140FA FF015011
	v_mul_f32_dpp v161, v17, v161 row_newbcast:1 row_mask:0xf bank_mask:0xf// 00000000445C: 0B4342FA FF015111
	v_mul_f32_dpp v162, v17, v162 row_newbcast:2 row_mask:0xf bank_mask:0xf// 000000004464: 0B4544FA FF015211
	v_mul_f32_dpp v163, v17, v163 row_newbcast:3 row_mask:0xf bank_mask:0xf// 00000000446C: 0B4746FA FF015311
	v_cvt_f32_i32_e32 v164, v164                               // 000000004474: 7F480BA4
	v_cvt_f32_i32_e32 v165, v165                               // 000000004478: 7F4A0BA5
	v_cvt_f32_i32_e32 v166, v166                               // 00000000447C: 7F4C0BA6
	v_cvt_f32_i32_e32 v167, v167                               // 000000004480: 7F4E0BA7
	v_mul_f32_e32 v164, v15, v164                              // 000000004484: 0B49490F
	v_mul_f32_e32 v165, v15, v165                              // 000000004488: 0B4B4B0F
	v_mul_f32_e32 v166, v15, v166                              // 00000000448C: 0B4D4D0F
	v_mul_f32_e32 v167, v15, v167                              // 000000004490: 0B4F4F0F
	v_mul_f32_dpp v164, v17, v164 row_newbcast:0 row_mask:0xf bank_mask:0xf// 000000004494: 0B4948FA FF015011
	v_mul_f32_dpp v165, v17, v165 row_newbcast:1 row_mask:0xf bank_mask:0xf// 00000000449C: 0B4B4AFA FF015111
	v_mul_f32_dpp v166, v17, v166 row_newbcast:2 row_mask:0xf bank_mask:0xf// 0000000044A4: 0B4D4CFA FF015211
	v_mul_f32_dpp v167, v17, v167 row_newbcast:3 row_mask:0xf bank_mask:0xf// 0000000044AC: 0B4F4EFA FF015311
	v_cvt_f32_i32_e32 v168, v168                               // 0000000044B4: 7F500BA8
	v_cvt_f32_i32_e32 v169, v169                               // 0000000044B8: 7F520BA9
	v_cvt_f32_i32_e32 v170, v170                               // 0000000044BC: 7F540BAA
	v_cvt_f32_i32_e32 v171, v171                               // 0000000044C0: 7F560BAB
	v_mul_f32_e32 v168, v14, v168                              // 0000000044C4: 0B51510E
	v_mul_f32_e32 v169, v14, v169                              // 0000000044C8: 0B53530E
	v_mul_f32_e32 v170, v14, v170                              // 0000000044CC: 0B55550E
	v_mul_f32_e32 v171, v14, v171                              // 0000000044D0: 0B57570E
	v_mul_f32_dpp v168, v17, v168 row_newbcast:4 row_mask:0xf bank_mask:0xf// 0000000044D4: 0B5150FA FF015411
	v_mul_f32_dpp v169, v17, v169 row_newbcast:5 row_mask:0xf bank_mask:0xf// 0000000044DC: 0B5352FA FF015511
	v_mul_f32_dpp v170, v17, v170 row_newbcast:6 row_mask:0xf bank_mask:0xf// 0000000044E4: 0B5554FA FF015611
	v_mul_f32_dpp v171, v17, v171 row_newbcast:7 row_mask:0xf bank_mask:0xf// 0000000044EC: 0B5756FA FF015711
	v_cvt_f32_i32_e32 v172, v172                               // 0000000044F4: 7F580BAC
	v_cvt_f32_i32_e32 v173, v173                               // 0000000044F8: 7F5A0BAD
	v_cvt_f32_i32_e32 v174, v174                               // 0000000044FC: 7F5C0BAE
	v_cvt_f32_i32_e32 v175, v175                               // 000000004500: 7F5E0BAF
	v_mul_f32_e32 v172, v15, v172                              // 000000004504: 0B59590F
	v_mul_f32_e32 v173, v15, v173                              // 000000004508: 0B5B5B0F
	v_mul_f32_e32 v174, v15, v174                              // 00000000450C: 0B5D5D0F
	v_mul_f32_e32 v175, v15, v175                              // 000000004510: 0B5F5F0F
	v_mul_f32_dpp v172, v17, v172 row_newbcast:4 row_mask:0xf bank_mask:0xf// 000000004514: 0B5958FA FF015411
	v_mul_f32_dpp v173, v17, v173 row_newbcast:5 row_mask:0xf bank_mask:0xf// 00000000451C: 0B5B5AFA FF015511
	v_mul_f32_dpp v174, v17, v174 row_newbcast:6 row_mask:0xf bank_mask:0xf// 000000004524: 0B5D5CFA FF015611
	v_mul_f32_dpp v175, v17, v175 row_newbcast:7 row_mask:0xf bank_mask:0xf// 00000000452C: 0B5F5EFA FF015711
	v_cvt_f32_i32_e32 v176, v176                               // 000000004534: 7F600BB0
	v_cvt_f32_i32_e32 v177, v177                               // 000000004538: 7F620BB1
	v_cvt_f32_i32_e32 v178, v178                               // 00000000453C: 7F640BB2
	v_cvt_f32_i32_e32 v179, v179                               // 000000004540: 7F660BB3
	v_mul_f32_e32 v176, v14, v176                              // 000000004544: 0B61610E
	v_mul_f32_e32 v177, v14, v177                              // 000000004548: 0B63630E
	v_mul_f32_e32 v178, v14, v178                              // 00000000454C: 0B65650E
	v_mul_f32_e32 v179, v14, v179                              // 000000004550: 0B67670E
	v_mul_f32_dpp v176, v17, v176 row_newbcast:8 row_mask:0xf bank_mask:0xf// 000000004554: 0B6160FA FF015811
	v_mul_f32_dpp v177, v17, v177 row_newbcast:9 row_mask:0xf bank_mask:0xf// 00000000455C: 0B6362FA FF015911
	v_mul_f32_dpp v178, v17, v178 row_newbcast:10 row_mask:0xf bank_mask:0xf// 000000004564: 0B6564FA FF015A11
	v_mul_f32_dpp v179, v17, v179 row_newbcast:11 row_mask:0xf bank_mask:0xf// 00000000456C: 0B6766FA FF015B11
	v_cvt_f32_i32_e32 v180, v180                               // 000000004574: 7F680BB4
	v_cvt_f32_i32_e32 v181, v181                               // 000000004578: 7F6A0BB5
	v_cvt_f32_i32_e32 v182, v182                               // 00000000457C: 7F6C0BB6
	v_cvt_f32_i32_e32 v183, v183                               // 000000004580: 7F6E0BB7
	v_mul_f32_e32 v180, v15, v180                              // 000000004584: 0B69690F
	v_mul_f32_e32 v181, v15, v181                              // 000000004588: 0B6B6B0F
	v_mul_f32_e32 v182, v15, v182                              // 00000000458C: 0B6D6D0F
	v_mul_f32_e32 v183, v15, v183                              // 000000004590: 0B6F6F0F
	v_mul_f32_dpp v180, v17, v180 row_newbcast:8 row_mask:0xf bank_mask:0xf// 000000004594: 0B6968FA FF015811
	v_mul_f32_dpp v181, v17, v181 row_newbcast:9 row_mask:0xf bank_mask:0xf// 00000000459C: 0B6B6AFA FF015911
	v_mul_f32_dpp v182, v17, v182 row_newbcast:10 row_mask:0xf bank_mask:0xf// 0000000045A4: 0B6D6CFA FF015A11
	v_mul_f32_dpp v183, v17, v183 row_newbcast:11 row_mask:0xf bank_mask:0xf// 0000000045AC: 0B6F6EFA FF015B11
	v_cvt_f32_i32_e32 v184, v184                               // 0000000045B4: 7F700BB8
	v_cvt_f32_i32_e32 v185, v185                               // 0000000045B8: 7F720BB9
	v_cvt_f32_i32_e32 v186, v186                               // 0000000045BC: 7F740BBA
	v_cvt_f32_i32_e32 v187, v187                               // 0000000045C0: 7F760BBB
	v_mul_f32_e32 v184, v14, v184                              // 0000000045C4: 0B71710E
	v_mul_f32_e32 v185, v14, v185                              // 0000000045C8: 0B73730E
	v_mul_f32_e32 v186, v14, v186                              // 0000000045CC: 0B75750E
	v_mul_f32_e32 v187, v14, v187                              // 0000000045D0: 0B77770E
	v_mul_f32_dpp v184, v17, v184 row_newbcast:12 row_mask:0xf bank_mask:0xf// 0000000045D4: 0B7170FA FF015C11
	v_mul_f32_dpp v185, v17, v185 row_newbcast:13 row_mask:0xf bank_mask:0xf// 0000000045DC: 0B7372FA FF015D11
	v_mul_f32_dpp v186, v17, v186 row_newbcast:14 row_mask:0xf bank_mask:0xf// 0000000045E4: 0B7574FA FF015E11
	v_mul_f32_dpp v187, v17, v187 row_newbcast:15 row_mask:0xf bank_mask:0xf// 0000000045EC: 0B7776FA FF015F11
	v_cvt_f32_i32_e32 v188, v188                               // 0000000045F4: 7F780BBC
	v_cvt_f32_i32_e32 v189, v189                               // 0000000045F8: 7F7A0BBD
	v_cvt_f32_i32_e32 v190, v190                               // 0000000045FC: 7F7C0BBE
	v_cvt_f32_i32_e32 v191, v191                               // 000000004600: 7F7E0BBF
	v_mul_f32_e32 v188, v15, v188                              // 000000004604: 0B79790F
	v_mul_f32_e32 v189, v15, v189                              // 000000004608: 0B7B7B0F
	v_mul_f32_e32 v190, v15, v190                              // 00000000460C: 0B7D7D0F
	v_mul_f32_e32 v191, v15, v191                              // 000000004610: 0B7F7F0F
	v_mul_f32_dpp v188, v17, v188 row_newbcast:12 row_mask:0xf bank_mask:0xf// 000000004614: 0B7978FA FF015C11
	v_mul_f32_dpp v189, v17, v189 row_newbcast:13 row_mask:0xf bank_mask:0xf// 00000000461C: 0B7B7AFA FF015D11
	v_mul_f32_dpp v190, v17, v190 row_newbcast:14 row_mask:0xf bank_mask:0xf// 000000004624: 0B7D7CFA FF015E11
	v_mul_f32_dpp v191, v17, v191 row_newbcast:15 row_mask:0xf bank_mask:0xf// 00000000462C: 0B7F7EFA FF015F11
	s_waitcnt vmcnt(24)                                        // 000000004634: BF8C4F78
	buffer_load_dwordx4 a[0:3], v42, s[12:15], 0 offen         // 000000004638: E05C1000 8083002A
	v_pk_mul_f32 v[54:55], v[128:129], v[128:129]              // 000000004640: D3B14036 18030180
	v_pk_mul_f32 v[56:57], v[130:131], v[130:131]              // 000000004648: D3B14038 18030582
	v_pk_fma_f32 v[54:55], v[54:55], s[82:83], v[58:59]        // 000000004650: D3B04036 1CE8A536
	v_pk_fma_f32 v[56:57], v[56:57], s[82:83], v[58:59]        // 000000004658: D3B04038 1CE8A538
	v_pk_mul_f32 v[54:55], v[54:55], v[128:129]                // 000000004660: D3B14036 18030136
	v_pk_mul_f32 v[56:57], v[56:57], v[130:131]                // 000000004668: D3B14038 18030538
	v_pk_mul_f32 v[54:55], v[54:55], s[6:7]                    // 000000004670: D3B14036 18000D36
	v_pk_mul_f32 v[56:57], v[56:57], s[6:7]                    // 000000004678: D3B14038 18000D38
	v_exp_f32_e32 v54, v54                                     // 000000004680: 7E6C4136
	v_exp_f32_e32 v55, v55                                     // 000000004684: 7E6E4137
	v_exp_f32_e32 v56, v56                                     // 000000004688: 7E704138
	v_exp_f32_e32 v57, v57                                     // 00000000468C: 7E724139
	buffer_load_dwordx4 a[4:7], v42, s[12:15], 0 offen offset:1024// 000000004690: E05C1400 8083042A
	v_add_f32_e64 v54, v54, 1.0                                // 000000004698: D1010036 0001E536
	v_add_f32_e64 v55, v55, 1.0                                // 0000000046A0: D1010037 0001E537
	v_add_f32_e64 v56, v56, 1.0                                // 0000000046A8: D1010038 0001E538
	v_add_f32_e64 v57, v57, 1.0                                // 0000000046B0: D1010039 0001E539
	v_rcp_f32_e32 v54, v54                                     // 0000000046B8: 7E6C4536
	v_rcp_f32_e32 v55, v55                                     // 0000000046BC: 7E6E4537
	v_rcp_f32_e32 v56, v56                                     // 0000000046C0: 7E704538
	v_rcp_f32_e32 v57, v57                                     // 0000000046C4: 7E724539
	v_pk_mul_f32 v[128:129], v[128:129], v[54:55]              // 0000000046C8: D3B14080 18026D80
	v_pk_mul_f32 v[130:131], v[130:131], v[56:57]              // 0000000046D0: D3B14082 18027182
	buffer_load_dwordx4 a[8:11], v42, s[12:15], 0 offen offset:2048// 0000000046D8: E05C1800 8083082A
	v_pk_mul_f32 v[54:55], v[132:133], v[132:133]              // 0000000046E0: D3B14036 18030984
	v_pk_mul_f32 v[56:57], v[134:135], v[134:135]              // 0000000046E8: D3B14038 18030D86
	v_pk_fma_f32 v[54:55], v[54:55], s[82:83], v[58:59]        // 0000000046F0: D3B04036 1CE8A536
	v_pk_fma_f32 v[56:57], v[56:57], s[82:83], v[58:59]        // 0000000046F8: D3B04038 1CE8A538
	v_pk_mul_f32 v[54:55], v[54:55], v[132:133]                // 000000004700: D3B14036 18030936
	v_pk_mul_f32 v[56:57], v[56:57], v[134:135]                // 000000004708: D3B14038 18030D38
	v_pk_mul_f32 v[54:55], v[54:55], s[6:7]                    // 000000004710: D3B14036 18000D36
	v_pk_mul_f32 v[56:57], v[56:57], s[6:7]                    // 000000004718: D3B14038 18000D38
	v_exp_f32_e32 v54, v54                                     // 000000004720: 7E6C4136
	v_exp_f32_e32 v55, v55                                     // 000000004724: 7E6E4137
	v_exp_f32_e32 v56, v56                                     // 000000004728: 7E704138
	v_exp_f32_e32 v57, v57                                     // 00000000472C: 7E724139
	buffer_load_dwordx4 a[12:15], v42, s[12:15], 0 offen offset:3072// 000000004730: E05C1C00 80830C2A
	v_add_f32_e64 v54, v54, 1.0                                // 000000004738: D1010036 0001E536
	v_add_f32_e64 v55, v55, 1.0                                // 000000004740: D1010037 0001E537
	v_add_f32_e64 v56, v56, 1.0                                // 000000004748: D1010038 0001E538
	v_add_f32_e64 v57, v57, 1.0                                // 000000004750: D1010039 0001E539
	v_rcp_f32_e32 v54, v54                                     // 000000004758: 7E6C4536
	v_rcp_f32_e32 v55, v55                                     // 00000000475C: 7E6E4537
	v_rcp_f32_e32 v56, v56                                     // 000000004760: 7E704538
	v_rcp_f32_e32 v57, v57                                     // 000000004764: 7E724539
	v_pk_mul_f32 v[132:133], v[132:133], v[54:55]              // 000000004768: D3B14084 18026D84
	v_pk_mul_f32 v[134:135], v[134:135], v[56:57]              // 000000004770: D3B14086 18027186
	buffer_load_dwordx4 a[16:19], v43, s[12:15], 0 offen       // 000000004778: E05C1000 8083102B
	v_pk_mul_f32 v[54:55], v[136:137], v[136:137]              // 000000004780: D3B14036 18031188
	v_pk_mul_f32 v[56:57], v[138:139], v[138:139]              // 000000004788: D3B14038 1803158A
	v_pk_fma_f32 v[54:55], v[54:55], s[82:83], v[58:59]        // 000000004790: D3B04036 1CE8A536
	v_pk_fma_f32 v[56:57], v[56:57], s[82:83], v[58:59]        // 000000004798: D3B04038 1CE8A538
	v_pk_mul_f32 v[54:55], v[54:55], v[136:137]                // 0000000047A0: D3B14036 18031136
	v_pk_mul_f32 v[56:57], v[56:57], v[138:139]                // 0000000047A8: D3B14038 18031538
	v_pk_mul_f32 v[54:55], v[54:55], s[6:7]                    // 0000000047B0: D3B14036 18000D36
	v_pk_mul_f32 v[56:57], v[56:57], s[6:7]                    // 0000000047B8: D3B14038 18000D38
	v_exp_f32_e32 v54, v54                                     // 0000000047C0: 7E6C4136
	v_exp_f32_e32 v55, v55                                     // 0000000047C4: 7E6E4137
	v_exp_f32_e32 v56, v56                                     // 0000000047C8: 7E704138
	v_exp_f32_e32 v57, v57                                     // 0000000047CC: 7E724139
	buffer_load_dwordx4 a[20:23], v43, s[12:15], 0 offen offset:1024// 0000000047D0: E05C1400 8083142B
	v_add_f32_e64 v54, v54, 1.0                                // 0000000047D8: D1010036 0001E536
	v_add_f32_e64 v55, v55, 1.0                                // 0000000047E0: D1010037 0001E537
	v_add_f32_e64 v56, v56, 1.0                                // 0000000047E8: D1010038 0001E538
	v_add_f32_e64 v57, v57, 1.0                                // 0000000047F0: D1010039 0001E539
	v_rcp_f32_e32 v54, v54                                     // 0000000047F8: 7E6C4536
	v_rcp_f32_e32 v55, v55                                     // 0000000047FC: 7E6E4537
	v_rcp_f32_e32 v56, v56                                     // 000000004800: 7E704538
	v_rcp_f32_e32 v57, v57                                     // 000000004804: 7E724539
	v_pk_mul_f32 v[136:137], v[136:137], v[54:55]              // 000000004808: D3B14088 18026D88
	v_pk_mul_f32 v[138:139], v[138:139], v[56:57]              // 000000004810: D3B1408A 1802718A
	buffer_load_dwordx4 a[24:27], v43, s[12:15], 0 offen offset:2048// 000000004818: E05C1800 8083182B
	v_pk_mul_f32 v[54:55], v[140:141], v[140:141]              // 000000004820: D3B14036 1803198C
	v_pk_mul_f32 v[56:57], v[142:143], v[142:143]              // 000000004828: D3B14038 18031D8E
	v_pk_fma_f32 v[54:55], v[54:55], s[82:83], v[58:59]        // 000000004830: D3B04036 1CE8A536
	v_pk_fma_f32 v[56:57], v[56:57], s[82:83], v[58:59]        // 000000004838: D3B04038 1CE8A538
	v_pk_mul_f32 v[54:55], v[54:55], v[140:141]                // 000000004840: D3B14036 18031936
	v_pk_mul_f32 v[56:57], v[56:57], v[142:143]                // 000000004848: D3B14038 18031D38
	v_pk_mul_f32 v[54:55], v[54:55], s[6:7]                    // 000000004850: D3B14036 18000D36
	v_pk_mul_f32 v[56:57], v[56:57], s[6:7]                    // 000000004858: D3B14038 18000D38
	v_exp_f32_e32 v54, v54                                     // 000000004860: 7E6C4136
	v_exp_f32_e32 v55, v55                                     // 000000004864: 7E6E4137
	v_exp_f32_e32 v56, v56                                     // 000000004868: 7E704138
	v_exp_f32_e32 v57, v57                                     // 00000000486C: 7E724139
	buffer_load_dwordx4 a[28:31], v43, s[12:15], 0 offen offset:3072// 000000004870: E05C1C00 80831C2B
	v_add_f32_e64 v54, v54, 1.0                                // 000000004878: D1010036 0001E536
	v_add_f32_e64 v55, v55, 1.0                                // 000000004880: D1010037 0001E537
	v_add_f32_e64 v56, v56, 1.0                                // 000000004888: D1010038 0001E538
	v_add_f32_e64 v57, v57, 1.0                                // 000000004890: D1010039 0001E539
	v_rcp_f32_e32 v54, v54                                     // 000000004898: 7E6C4536
	v_rcp_f32_e32 v55, v55                                     // 00000000489C: 7E6E4537
	v_rcp_f32_e32 v56, v56                                     // 0000000048A0: 7E704538
	v_rcp_f32_e32 v57, v57                                     // 0000000048A4: 7E724539
	v_pk_mul_f32 v[140:141], v[140:141], v[54:55]              // 0000000048A8: D3B1408C 18026D8C
	v_pk_mul_f32 v[142:143], v[142:143], v[56:57]              // 0000000048B0: D3B1408E 1802718E
	s_waitcnt vmcnt(24)                                        // 0000000048B8: BF8C4F78
	buffer_load_dwordx4 a[32:35], v44, s[12:15], 0 offen       // 0000000048BC: E05C1000 8083202C
	v_pk_mul_f32 v[54:55], v[144:145], v[144:145]              // 0000000048C4: D3B14036 18032190
	v_pk_mul_f32 v[56:57], v[146:147], v[146:147]              // 0000000048CC: D3B14038 18032592
	v_pk_fma_f32 v[54:55], v[54:55], s[82:83], v[58:59]        // 0000000048D4: D3B04036 1CE8A536
	v_pk_fma_f32 v[56:57], v[56:57], s[82:83], v[58:59]        // 0000000048DC: D3B04038 1CE8A538
	v_pk_mul_f32 v[54:55], v[54:55], v[144:145]                // 0000000048E4: D3B14036 18032136
	v_pk_mul_f32 v[56:57], v[56:57], v[146:147]                // 0000000048EC: D3B14038 18032538
	v_pk_mul_f32 v[54:55], v[54:55], s[6:7]                    // 0000000048F4: D3B14036 18000D36
	v_pk_mul_f32 v[56:57], v[56:57], s[6:7]                    // 0000000048FC: D3B14038 18000D38
	v_exp_f32_e32 v54, v54                                     // 000000004904: 7E6C4136
	v_exp_f32_e32 v55, v55                                     // 000000004908: 7E6E4137
	v_exp_f32_e32 v56, v56                                     // 00000000490C: 7E704138
	v_exp_f32_e32 v57, v57                                     // 000000004910: 7E724139
	buffer_load_dwordx4 a[36:39], v44, s[12:15], 0 offen offset:1024// 000000004914: E05C1400 8083242C
	v_add_f32_e64 v54, v54, 1.0                                // 00000000491C: D1010036 0001E536
	v_add_f32_e64 v55, v55, 1.0                                // 000000004924: D1010037 0001E537
	v_add_f32_e64 v56, v56, 1.0                                // 00000000492C: D1010038 0001E538
	v_add_f32_e64 v57, v57, 1.0                                // 000000004934: D1010039 0001E539
	v_rcp_f32_e32 v54, v54                                     // 00000000493C: 7E6C4536
	v_rcp_f32_e32 v55, v55                                     // 000000004940: 7E6E4537
	v_rcp_f32_e32 v56, v56                                     // 000000004944: 7E704538
	v_rcp_f32_e32 v57, v57                                     // 000000004948: 7E724539
	v_pk_mul_f32 v[144:145], v[144:145], v[54:55]              // 00000000494C: D3B14090 18026D90
	v_pk_mul_f32 v[146:147], v[146:147], v[56:57]              // 000000004954: D3B14092 18027192
	buffer_load_dwordx4 a[40:43], v44, s[12:15], 0 offen offset:2048// 00000000495C: E05C1800 8083282C
	v_pk_mul_f32 v[54:55], v[148:149], v[148:149]              // 000000004964: D3B14036 18032994
	v_pk_mul_f32 v[56:57], v[150:151], v[150:151]              // 00000000496C: D3B14038 18032D96
	v_pk_fma_f32 v[54:55], v[54:55], s[82:83], v[58:59]        // 000000004974: D3B04036 1CE8A536
	v_pk_fma_f32 v[56:57], v[56:57], s[82:83], v[58:59]        // 00000000497C: D3B04038 1CE8A538
	v_pk_mul_f32 v[54:55], v[54:55], v[148:149]                // 000000004984: D3B14036 18032936
	v_pk_mul_f32 v[56:57], v[56:57], v[150:151]                // 00000000498C: D3B14038 18032D38
	v_pk_mul_f32 v[54:55], v[54:55], s[6:7]                    // 000000004994: D3B14036 18000D36
	v_pk_mul_f32 v[56:57], v[56:57], s[6:7]                    // 00000000499C: D3B14038 18000D38
	v_exp_f32_e32 v54, v54                                     // 0000000049A4: 7E6C4136
	v_exp_f32_e32 v55, v55                                     // 0000000049A8: 7E6E4137
	v_exp_f32_e32 v56, v56                                     // 0000000049AC: 7E704138
	v_exp_f32_e32 v57, v57                                     // 0000000049B0: 7E724139
	buffer_load_dwordx4 a[44:47], v44, s[12:15], 0 offen offset:3072// 0000000049B4: E05C1C00 80832C2C
	v_add_f32_e64 v54, v54, 1.0                                // 0000000049BC: D1010036 0001E536
	v_add_f32_e64 v55, v55, 1.0                                // 0000000049C4: D1010037 0001E537
	v_add_f32_e64 v56, v56, 1.0                                // 0000000049CC: D1010038 0001E538
	v_add_f32_e64 v57, v57, 1.0                                // 0000000049D4: D1010039 0001E539
	v_rcp_f32_e32 v54, v54                                     // 0000000049DC: 7E6C4536
	v_rcp_f32_e32 v55, v55                                     // 0000000049E0: 7E6E4537
	v_rcp_f32_e32 v56, v56                                     // 0000000049E4: 7E704538
	v_rcp_f32_e32 v57, v57                                     // 0000000049E8: 7E724539
	v_pk_mul_f32 v[148:149], v[148:149], v[54:55]              // 0000000049EC: D3B14094 18026D94
	v_pk_mul_f32 v[150:151], v[150:151], v[56:57]              // 0000000049F4: D3B14096 18027196
	buffer_load_dwordx4 a[48:51], v45, s[12:15], 0 offen       // 0000000049FC: E05C1000 8083302D
	v_pk_mul_f32 v[54:55], v[152:153], v[152:153]              // 000000004A04: D3B14036 18033198
	v_pk_mul_f32 v[56:57], v[154:155], v[154:155]              // 000000004A0C: D3B14038 1803359A
	v_pk_fma_f32 v[54:55], v[54:55], s[82:83], v[58:59]        // 000000004A14: D3B04036 1CE8A536
	v_pk_fma_f32 v[56:57], v[56:57], s[82:83], v[58:59]        // 000000004A1C: D3B04038 1CE8A538
	v_pk_mul_f32 v[54:55], v[54:55], v[152:153]                // 000000004A24: D3B14036 18033136
	v_pk_mul_f32 v[56:57], v[56:57], v[154:155]                // 000000004A2C: D3B14038 18033538
	v_pk_mul_f32 v[54:55], v[54:55], s[6:7]                    // 000000004A34: D3B14036 18000D36
	v_pk_mul_f32 v[56:57], v[56:57], s[6:7]                    // 000000004A3C: D3B14038 18000D38
	v_exp_f32_e32 v54, v54                                     // 000000004A44: 7E6C4136
	v_exp_f32_e32 v55, v55                                     // 000000004A48: 7E6E4137
	v_exp_f32_e32 v56, v56                                     // 000000004A4C: 7E704138
	v_exp_f32_e32 v57, v57                                     // 000000004A50: 7E724139
	buffer_load_dwordx4 a[52:55], v45, s[12:15], 0 offen offset:1024// 000000004A54: E05C1400 8083342D
	v_add_f32_e64 v54, v54, 1.0                                // 000000004A5C: D1010036 0001E536
	v_add_f32_e64 v55, v55, 1.0                                // 000000004A64: D1010037 0001E537
	v_add_f32_e64 v56, v56, 1.0                                // 000000004A6C: D1010038 0001E538
	v_add_f32_e64 v57, v57, 1.0                                // 000000004A74: D1010039 0001E539
	v_rcp_f32_e32 v54, v54                                     // 000000004A7C: 7E6C4536
	v_rcp_f32_e32 v55, v55                                     // 000000004A80: 7E6E4537
	v_rcp_f32_e32 v56, v56                                     // 000000004A84: 7E704538
	v_rcp_f32_e32 v57, v57                                     // 000000004A88: 7E724539
	v_pk_mul_f32 v[152:153], v[152:153], v[54:55]              // 000000004A8C: D3B14098 18026D98
	v_pk_mul_f32 v[154:155], v[154:155], v[56:57]              // 000000004A94: D3B1409A 1802719A
	buffer_load_dwordx4 a[56:59], v45, s[12:15], 0 offen offset:2048// 000000004A9C: E05C1800 8083382D
	v_pk_mul_f32 v[54:55], v[156:157], v[156:157]              // 000000004AA4: D3B14036 1803399C
	v_pk_mul_f32 v[56:57], v[158:159], v[158:159]              // 000000004AAC: D3B14038 18033D9E
	v_pk_fma_f32 v[54:55], v[54:55], s[82:83], v[58:59]        // 000000004AB4: D3B04036 1CE8A536
	v_pk_fma_f32 v[56:57], v[56:57], s[82:83], v[58:59]        // 000000004ABC: D3B04038 1CE8A538
	v_pk_mul_f32 v[54:55], v[54:55], v[156:157]                // 000000004AC4: D3B14036 18033936
	v_pk_mul_f32 v[56:57], v[56:57], v[158:159]                // 000000004ACC: D3B14038 18033D38
	v_pk_mul_f32 v[54:55], v[54:55], s[6:7]                    // 000000004AD4: D3B14036 18000D36
	v_pk_mul_f32 v[56:57], v[56:57], s[6:7]                    // 000000004ADC: D3B14038 18000D38
	v_exp_f32_e32 v54, v54                                     // 000000004AE4: 7E6C4136
	v_exp_f32_e32 v55, v55                                     // 000000004AE8: 7E6E4137
	v_exp_f32_e32 v56, v56                                     // 000000004AEC: 7E704138
	v_exp_f32_e32 v57, v57                                     // 000000004AF0: 7E724139
	buffer_load_dwordx4 a[60:63], v45, s[12:15], 0 offen offset:3072// 000000004AF4: E05C1C00 80833C2D
	s_add_u32 s12, s78, s12                                    // 000000004AFC: 800C0C4E
	s_addc_u32 s13, 0, s13                                     // 000000004B00: 820D0D80
	v_add_f32_e64 v54, v54, 1.0                                // 000000004B04: D1010036 0001E536
	v_add_f32_e64 v55, v55, 1.0                                // 000000004B0C: D1010037 0001E537
	v_add_f32_e64 v56, v56, 1.0                                // 000000004B14: D1010038 0001E538
	v_add_f32_e64 v57, v57, 1.0                                // 000000004B1C: D1010039 0001E539
	v_rcp_f32_e32 v54, v54                                     // 000000004B24: 7E6C4536
	v_rcp_f32_e32 v55, v55                                     // 000000004B28: 7E6E4537
	v_rcp_f32_e32 v56, v56                                     // 000000004B2C: 7E704538
	v_rcp_f32_e32 v57, v57                                     // 000000004B30: 7E724539
	v_pk_mul_f32 v[156:157], v[156:157], v[54:55]              // 000000004B34: D3B1409C 18026D9C
	v_pk_mul_f32 v[158:159], v[158:159], v[56:57]              // 000000004B3C: D3B1409E 1802719E
	s_waitcnt vmcnt(24)                                        // 000000004B44: BF8C4F78
	buffer_load_dwordx4 a[64:67], v42, s[12:15], 0 offen       // 000000004B48: E05C1000 8083402A
	v_pk_mul_f32 v[54:55], v[160:161], v[160:161]              // 000000004B50: D3B14036 180341A0
	v_pk_mul_f32 v[56:57], v[162:163], v[162:163]              // 000000004B58: D3B14038 180345A2
	v_pk_fma_f32 v[54:55], v[54:55], s[82:83], v[58:59]        // 000000004B60: D3B04036 1CE8A536
	v_pk_fma_f32 v[56:57], v[56:57], s[82:83], v[58:59]        // 000000004B68: D3B04038 1CE8A538
	v_pk_mul_f32 v[54:55], v[54:55], v[160:161]                // 000000004B70: D3B14036 18034136
	v_pk_mul_f32 v[56:57], v[56:57], v[162:163]                // 000000004B78: D3B14038 18034538
	v_pk_mul_f32 v[54:55], v[54:55], s[6:7]                    // 000000004B80: D3B14036 18000D36
	v_pk_mul_f32 v[56:57], v[56:57], s[6:7]                    // 000000004B88: D3B14038 18000D38
	v_exp_f32_e32 v54, v54                                     // 000000004B90: 7E6C4136
	v_exp_f32_e32 v55, v55                                     // 000000004B94: 7E6E4137
	v_exp_f32_e32 v56, v56                                     // 000000004B98: 7E704138
	v_exp_f32_e32 v57, v57                                     // 000000004B9C: 7E724139
	buffer_load_dwordx4 a[68:71], v42, s[12:15], 0 offen offset:1024// 000000004BA0: E05C1400 8083442A
	v_add_f32_e64 v54, v54, 1.0                                // 000000004BA8: D1010036 0001E536
	v_add_f32_e64 v55, v55, 1.0                                // 000000004BB0: D1010037 0001E537
	v_add_f32_e64 v56, v56, 1.0                                // 000000004BB8: D1010038 0001E538
	v_add_f32_e64 v57, v57, 1.0                                // 000000004BC0: D1010039 0001E539
	v_rcp_f32_e32 v54, v54                                     // 000000004BC8: 7E6C4536
	v_rcp_f32_e32 v55, v55                                     // 000000004BCC: 7E6E4537
	v_rcp_f32_e32 v56, v56                                     // 000000004BD0: 7E704538
	v_rcp_f32_e32 v57, v57                                     // 000000004BD4: 7E724539
	v_pk_mul_f32 v[160:161], v[160:161], v[54:55]              // 000000004BD8: D3B140A0 18026DA0
	v_pk_mul_f32 v[162:163], v[162:163], v[56:57]              // 000000004BE0: D3B140A2 180271A2
	buffer_load_dwordx4 a[72:75], v42, s[12:15], 0 offen offset:2048// 000000004BE8: E05C1800 8083482A
	v_pk_mul_f32 v[54:55], v[164:165], v[164:165]              // 000000004BF0: D3B14036 180349A4
	v_pk_mul_f32 v[56:57], v[166:167], v[166:167]              // 000000004BF8: D3B14038 18034DA6
	v_pk_fma_f32 v[54:55], v[54:55], s[82:83], v[58:59]        // 000000004C00: D3B04036 1CE8A536
	v_pk_fma_f32 v[56:57], v[56:57], s[82:83], v[58:59]        // 000000004C08: D3B04038 1CE8A538
	v_pk_mul_f32 v[54:55], v[54:55], v[164:165]                // 000000004C10: D3B14036 18034936
	v_pk_mul_f32 v[56:57], v[56:57], v[166:167]                // 000000004C18: D3B14038 18034D38
	v_pk_mul_f32 v[54:55], v[54:55], s[6:7]                    // 000000004C20: D3B14036 18000D36
	v_pk_mul_f32 v[56:57], v[56:57], s[6:7]                    // 000000004C28: D3B14038 18000D38
	v_exp_f32_e32 v54, v54                                     // 000000004C30: 7E6C4136
	v_exp_f32_e32 v55, v55                                     // 000000004C34: 7E6E4137
	v_exp_f32_e32 v56, v56                                     // 000000004C38: 7E704138
	v_exp_f32_e32 v57, v57                                     // 000000004C3C: 7E724139
	buffer_load_dwordx4 a[76:79], v42, s[12:15], 0 offen offset:3072// 000000004C40: E05C1C00 80834C2A
	v_add_f32_e64 v54, v54, 1.0                                // 000000004C48: D1010036 0001E536
	v_add_f32_e64 v55, v55, 1.0                                // 000000004C50: D1010037 0001E537
	v_add_f32_e64 v56, v56, 1.0                                // 000000004C58: D1010038 0001E538
	v_add_f32_e64 v57, v57, 1.0                                // 000000004C60: D1010039 0001E539
	v_rcp_f32_e32 v54, v54                                     // 000000004C68: 7E6C4536
	v_rcp_f32_e32 v55, v55                                     // 000000004C6C: 7E6E4537
	v_rcp_f32_e32 v56, v56                                     // 000000004C70: 7E704538
	v_rcp_f32_e32 v57, v57                                     // 000000004C74: 7E724539
	v_pk_mul_f32 v[164:165], v[164:165], v[54:55]              // 000000004C78: D3B140A4 18026DA4
	v_pk_mul_f32 v[166:167], v[166:167], v[56:57]              // 000000004C80: D3B140A6 180271A6
	buffer_load_dwordx4 a[80:83], v43, s[12:15], 0 offen       // 000000004C88: E05C1000 8083502B
	v_pk_mul_f32 v[54:55], v[168:169], v[168:169]              // 000000004C90: D3B14036 180351A8
	v_pk_mul_f32 v[56:57], v[170:171], v[170:171]              // 000000004C98: D3B14038 180355AA
	v_pk_fma_f32 v[54:55], v[54:55], s[82:83], v[58:59]        // 000000004CA0: D3B04036 1CE8A536
	v_pk_fma_f32 v[56:57], v[56:57], s[82:83], v[58:59]        // 000000004CA8: D3B04038 1CE8A538
	v_pk_mul_f32 v[54:55], v[54:55], v[168:169]                // 000000004CB0: D3B14036 18035136
	v_pk_mul_f32 v[56:57], v[56:57], v[170:171]                // 000000004CB8: D3B14038 18035538
	v_pk_mul_f32 v[54:55], v[54:55], s[6:7]                    // 000000004CC0: D3B14036 18000D36
	v_pk_mul_f32 v[56:57], v[56:57], s[6:7]                    // 000000004CC8: D3B14038 18000D38
	v_exp_f32_e32 v54, v54                                     // 000000004CD0: 7E6C4136
	v_exp_f32_e32 v55, v55                                     // 000000004CD4: 7E6E4137
	v_exp_f32_e32 v56, v56                                     // 000000004CD8: 7E704138
	v_exp_f32_e32 v57, v57                                     // 000000004CDC: 7E724139
	buffer_load_dwordx4 a[84:87], v43, s[12:15], 0 offen offset:1024// 000000004CE0: E05C1400 8083542B
	v_add_f32_e64 v54, v54, 1.0                                // 000000004CE8: D1010036 0001E536
	v_add_f32_e64 v55, v55, 1.0                                // 000000004CF0: D1010037 0001E537
	v_add_f32_e64 v56, v56, 1.0                                // 000000004CF8: D1010038 0001E538
	v_add_f32_e64 v57, v57, 1.0                                // 000000004D00: D1010039 0001E539
	v_rcp_f32_e32 v54, v54                                     // 000000004D08: 7E6C4536
	v_rcp_f32_e32 v55, v55                                     // 000000004D0C: 7E6E4537
	v_rcp_f32_e32 v56, v56                                     // 000000004D10: 7E704538
	v_rcp_f32_e32 v57, v57                                     // 000000004D14: 7E724539
	v_pk_mul_f32 v[168:169], v[168:169], v[54:55]              // 000000004D18: D3B140A8 18026DA8
	v_pk_mul_f32 v[170:171], v[170:171], v[56:57]              // 000000004D20: D3B140AA 180271AA
	buffer_load_dwordx4 a[88:91], v43, s[12:15], 0 offen offset:2048// 000000004D28: E05C1800 8083582B
	v_pk_mul_f32 v[54:55], v[172:173], v[172:173]              // 000000004D30: D3B14036 180359AC
	v_pk_mul_f32 v[56:57], v[174:175], v[174:175]              // 000000004D38: D3B14038 18035DAE
	v_pk_fma_f32 v[54:55], v[54:55], s[82:83], v[58:59]        // 000000004D40: D3B04036 1CE8A536
	v_pk_fma_f32 v[56:57], v[56:57], s[82:83], v[58:59]        // 000000004D48: D3B04038 1CE8A538
	v_pk_mul_f32 v[54:55], v[54:55], v[172:173]                // 000000004D50: D3B14036 18035936
	v_pk_mul_f32 v[56:57], v[56:57], v[174:175]                // 000000004D58: D3B14038 18035D38
	v_pk_mul_f32 v[54:55], v[54:55], s[6:7]                    // 000000004D60: D3B14036 18000D36
	v_pk_mul_f32 v[56:57], v[56:57], s[6:7]                    // 000000004D68: D3B14038 18000D38
	v_exp_f32_e32 v54, v54                                     // 000000004D70: 7E6C4136
	v_exp_f32_e32 v55, v55                                     // 000000004D74: 7E6E4137
	v_exp_f32_e32 v56, v56                                     // 000000004D78: 7E704138
	v_exp_f32_e32 v57, v57                                     // 000000004D7C: 7E724139
	buffer_load_dwordx4 a[92:95], v43, s[12:15], 0 offen offset:3072// 000000004D80: E05C1C00 80835C2B
	v_add_f32_e64 v54, v54, 1.0                                // 000000004D88: D1010036 0001E536
	v_add_f32_e64 v55, v55, 1.0                                // 000000004D90: D1010037 0001E537
	v_add_f32_e64 v56, v56, 1.0                                // 000000004D98: D1010038 0001E538
	v_add_f32_e64 v57, v57, 1.0                                // 000000004DA0: D1010039 0001E539
	v_rcp_f32_e32 v54, v54                                     // 000000004DA8: 7E6C4536
	v_rcp_f32_e32 v55, v55                                     // 000000004DAC: 7E6E4537
	v_rcp_f32_e32 v56, v56                                     // 000000004DB0: 7E704538
	v_rcp_f32_e32 v57, v57                                     // 000000004DB4: 7E724539
	v_pk_mul_f32 v[172:173], v[172:173], v[54:55]              // 000000004DB8: D3B140AC 18026DAC
	v_pk_mul_f32 v[174:175], v[174:175], v[56:57]              // 000000004DC0: D3B140AE 180271AE
	s_waitcnt vmcnt(24)                                        // 000000004DC8: BF8C4F78
	buffer_load_dwordx4 a[96:99], v44, s[12:15], 0 offen       // 000000004DCC: E05C1000 8083602C
	v_pk_mul_f32 v[54:55], v[176:177], v[176:177]              // 000000004DD4: D3B14036 180361B0
	v_pk_mul_f32 v[56:57], v[178:179], v[178:179]              // 000000004DDC: D3B14038 180365B2
	v_pk_fma_f32 v[54:55], v[54:55], s[82:83], v[58:59]        // 000000004DE4: D3B04036 1CE8A536
	v_pk_fma_f32 v[56:57], v[56:57], s[82:83], v[58:59]        // 000000004DEC: D3B04038 1CE8A538
	v_pk_mul_f32 v[54:55], v[54:55], v[176:177]                // 000000004DF4: D3B14036 18036136
	v_pk_mul_f32 v[56:57], v[56:57], v[178:179]                // 000000004DFC: D3B14038 18036538
	v_pk_mul_f32 v[54:55], v[54:55], s[6:7]                    // 000000004E04: D3B14036 18000D36
	v_pk_mul_f32 v[56:57], v[56:57], s[6:7]                    // 000000004E0C: D3B14038 18000D38
	v_exp_f32_e32 v54, v54                                     // 000000004E14: 7E6C4136
	v_exp_f32_e32 v55, v55                                     // 000000004E18: 7E6E4137
	v_exp_f32_e32 v56, v56                                     // 000000004E1C: 7E704138
	v_exp_f32_e32 v57, v57                                     // 000000004E20: 7E724139
	buffer_load_dwordx4 a[100:103], v44, s[12:15], 0 offen offset:1024// 000000004E24: E05C1400 8083642C
	v_add_f32_e64 v54, v54, 1.0                                // 000000004E2C: D1010036 0001E536
	v_add_f32_e64 v55, v55, 1.0                                // 000000004E34: D1010037 0001E537
	v_add_f32_e64 v56, v56, 1.0                                // 000000004E3C: D1010038 0001E538
	v_add_f32_e64 v57, v57, 1.0                                // 000000004E44: D1010039 0001E539
	v_rcp_f32_e32 v54, v54                                     // 000000004E4C: 7E6C4536
	v_rcp_f32_e32 v55, v55                                     // 000000004E50: 7E6E4537
	v_rcp_f32_e32 v56, v56                                     // 000000004E54: 7E704538
	v_rcp_f32_e32 v57, v57                                     // 000000004E58: 7E724539
	v_pk_mul_f32 v[176:177], v[176:177], v[54:55]              // 000000004E5C: D3B140B0 18026DB0
	v_pk_mul_f32 v[178:179], v[178:179], v[56:57]              // 000000004E64: D3B140B2 180271B2
	buffer_load_dwordx4 a[104:107], v44, s[12:15], 0 offen offset:2048// 000000004E6C: E05C1800 8083682C
	v_pk_mul_f32 v[54:55], v[180:181], v[180:181]              // 000000004E74: D3B14036 180369B4
	v_pk_mul_f32 v[56:57], v[182:183], v[182:183]              // 000000004E7C: D3B14038 18036DB6
	v_pk_fma_f32 v[54:55], v[54:55], s[82:83], v[58:59]        // 000000004E84: D3B04036 1CE8A536
	v_pk_fma_f32 v[56:57], v[56:57], s[82:83], v[58:59]        // 000000004E8C: D3B04038 1CE8A538
	v_pk_mul_f32 v[54:55], v[54:55], v[180:181]                // 000000004E94: D3B14036 18036936
	v_pk_mul_f32 v[56:57], v[56:57], v[182:183]                // 000000004E9C: D3B14038 18036D38
	v_pk_mul_f32 v[54:55], v[54:55], s[6:7]                    // 000000004EA4: D3B14036 18000D36
	v_pk_mul_f32 v[56:57], v[56:57], s[6:7]                    // 000000004EAC: D3B14038 18000D38
	v_exp_f32_e32 v54, v54                                     // 000000004EB4: 7E6C4136
	v_exp_f32_e32 v55, v55                                     // 000000004EB8: 7E6E4137
	v_exp_f32_e32 v56, v56                                     // 000000004EBC: 7E704138
	v_exp_f32_e32 v57, v57                                     // 000000004EC0: 7E724139
	buffer_load_dwordx4 a[108:111], v44, s[12:15], 0 offen offset:3072// 000000004EC4: E05C1C00 80836C2C
	v_add_f32_e64 v54, v54, 1.0                                // 000000004ECC: D1010036 0001E536
	v_add_f32_e64 v55, v55, 1.0                                // 000000004ED4: D1010037 0001E537
	v_add_f32_e64 v56, v56, 1.0                                // 000000004EDC: D1010038 0001E538
	v_add_f32_e64 v57, v57, 1.0                                // 000000004EE4: D1010039 0001E539
	v_rcp_f32_e32 v54, v54                                     // 000000004EEC: 7E6C4536
	v_rcp_f32_e32 v55, v55                                     // 000000004EF0: 7E6E4537
	v_rcp_f32_e32 v56, v56                                     // 000000004EF4: 7E704538
	v_rcp_f32_e32 v57, v57                                     // 000000004EF8: 7E724539
	v_pk_mul_f32 v[180:181], v[180:181], v[54:55]              // 000000004EFC: D3B140B4 18026DB4
	v_pk_mul_f32 v[182:183], v[182:183], v[56:57]              // 000000004F04: D3B140B6 180271B6
	buffer_load_dwordx4 a[112:115], v45, s[12:15], 0 offen     // 000000004F0C: E05C1000 8083702D
	v_pk_mul_f32 v[54:55], v[184:185], v[184:185]              // 000000004F14: D3B14036 180371B8
	v_pk_mul_f32 v[56:57], v[186:187], v[186:187]              // 000000004F1C: D3B14038 180375BA
	v_pk_fma_f32 v[54:55], v[54:55], s[82:83], v[58:59]        // 000000004F24: D3B04036 1CE8A536
	v_pk_fma_f32 v[56:57], v[56:57], s[82:83], v[58:59]        // 000000004F2C: D3B04038 1CE8A538
	v_pk_mul_f32 v[54:55], v[54:55], v[184:185]                // 000000004F34: D3B14036 18037136
	v_pk_mul_f32 v[56:57], v[56:57], v[186:187]                // 000000004F3C: D3B14038 18037538
	v_pk_mul_f32 v[54:55], v[54:55], s[6:7]                    // 000000004F44: D3B14036 18000D36
	v_pk_mul_f32 v[56:57], v[56:57], s[6:7]                    // 000000004F4C: D3B14038 18000D38
	v_exp_f32_e32 v54, v54                                     // 000000004F54: 7E6C4136
	v_exp_f32_e32 v55, v55                                     // 000000004F58: 7E6E4137
	v_exp_f32_e32 v56, v56                                     // 000000004F5C: 7E704138
	v_exp_f32_e32 v57, v57                                     // 000000004F60: 7E724139
	buffer_load_dwordx4 a[116:119], v45, s[12:15], 0 offen offset:1024// 000000004F64: E05C1400 8083742D
	v_add_f32_e64 v54, v54, 1.0                                // 000000004F6C: D1010036 0001E536
	v_add_f32_e64 v55, v55, 1.0                                // 000000004F74: D1010037 0001E537
	v_add_f32_e64 v56, v56, 1.0                                // 000000004F7C: D1010038 0001E538
	v_add_f32_e64 v57, v57, 1.0                                // 000000004F84: D1010039 0001E539
	v_rcp_f32_e32 v54, v54                                     // 000000004F8C: 7E6C4536
	v_rcp_f32_e32 v55, v55                                     // 000000004F90: 7E6E4537
	v_rcp_f32_e32 v56, v56                                     // 000000004F94: 7E704538
	v_rcp_f32_e32 v57, v57                                     // 000000004F98: 7E724539
	v_pk_mul_f32 v[184:185], v[184:185], v[54:55]              // 000000004F9C: D3B140B8 18026DB8
	v_pk_mul_f32 v[186:187], v[186:187], v[56:57]              // 000000004FA4: D3B140BA 180271BA
	buffer_load_dwordx4 a[120:123], v45, s[12:15], 0 offen offset:2048// 000000004FAC: E05C1800 8083782D
	v_pk_mul_f32 v[54:55], v[188:189], v[188:189]              // 000000004FB4: D3B14036 180379BC
	v_pk_mul_f32 v[56:57], v[190:191], v[190:191]              // 000000004FBC: D3B14038 18037DBE
	v_pk_fma_f32 v[54:55], v[54:55], s[82:83], v[58:59]        // 000000004FC4: D3B04036 1CE8A536
	v_pk_fma_f32 v[56:57], v[56:57], s[82:83], v[58:59]        // 000000004FCC: D3B04038 1CE8A538
	v_pk_mul_f32 v[54:55], v[54:55], v[188:189]                // 000000004FD4: D3B14036 18037936
	v_pk_mul_f32 v[56:57], v[56:57], v[190:191]                // 000000004FDC: D3B14038 18037D38
	v_pk_mul_f32 v[54:55], v[54:55], s[6:7]                    // 000000004FE4: D3B14036 18000D36
	v_pk_mul_f32 v[56:57], v[56:57], s[6:7]                    // 000000004FEC: D3B14038 18000D38
	v_exp_f32_e32 v54, v54                                     // 000000004FF4: 7E6C4136
	v_exp_f32_e32 v55, v55                                     // 000000004FF8: 7E6E4137
	v_exp_f32_e32 v56, v56                                     // 000000004FFC: 7E704138
	v_exp_f32_e32 v57, v57                                     // 000000005000: 7E724139
	buffer_load_dwordx4 a[124:127], v45, s[12:15], 0 offen offset:3072// 000000005004: E05C1C00 80837C2D
	v_add_f32_e64 v54, v54, 1.0                                // 00000000500C: D1010036 0001E536
	v_add_f32_e64 v55, v55, 1.0                                // 000000005014: D1010037 0001E537
	v_add_f32_e64 v56, v56, 1.0                                // 00000000501C: D1010038 0001E538
	v_add_f32_e64 v57, v57, 1.0                                // 000000005024: D1010039 0001E539
	v_rcp_f32_e32 v54, v54                                     // 00000000502C: 7E6C4536
	v_rcp_f32_e32 v55, v55                                     // 000000005030: 7E6E4537
	v_rcp_f32_e32 v56, v56                                     // 000000005034: 7E704538
	v_rcp_f32_e32 v57, v57                                     // 000000005038: 7E724539
	v_pk_mul_f32 v[188:189], v[188:189], v[54:55]              // 00000000503C: D3B140BC 18026DBC
	v_pk_mul_f32 v[190:191], v[190:191], v[56:57]              // 000000005044: D3B140BE 180271BE
	v_mul_f32_dpp v128, v18, v128 row_newbcast:0 row_mask:0xf bank_mask:0xf// 00000000504C: 0B0100FA FF015012
	v_mul_f32_dpp v129, v18, v129 row_newbcast:1 row_mask:0xf bank_mask:0xf// 000000005054: 0B0302FA FF015112
	v_mul_f32_dpp v130, v18, v130 row_newbcast:2 row_mask:0xf bank_mask:0xf// 00000000505C: 0B0504FA FF015212
	v_mul_f32_dpp v131, v18, v131 row_newbcast:3 row_mask:0xf bank_mask:0xf// 000000005064: 0B0706FA FF015312
	v_mul_f32_dpp v132, v18, v132 row_newbcast:0 row_mask:0xf bank_mask:0xf// 00000000506C: 0B0908FA FF015012
	v_mul_f32_dpp v133, v18, v133 row_newbcast:1 row_mask:0xf bank_mask:0xf// 000000005074: 0B0B0AFA FF015112
	v_mul_f32_dpp v134, v18, v134 row_newbcast:2 row_mask:0xf bank_mask:0xf// 00000000507C: 0B0D0CFA FF015212
	v_mul_f32_dpp v135, v18, v135 row_newbcast:3 row_mask:0xf bank_mask:0xf// 000000005084: 0B0F0EFA FF015312
	v_mul_f32_dpp v136, v18, v136 row_newbcast:4 row_mask:0xf bank_mask:0xf// 00000000508C: 0B1110FA FF015412
	v_mul_f32_dpp v137, v18, v137 row_newbcast:5 row_mask:0xf bank_mask:0xf// 000000005094: 0B1312FA FF015512
	v_mul_f32_dpp v138, v18, v138 row_newbcast:6 row_mask:0xf bank_mask:0xf// 00000000509C: 0B1514FA FF015612
	v_mul_f32_dpp v139, v18, v139 row_newbcast:7 row_mask:0xf bank_mask:0xf// 0000000050A4: 0B1716FA FF015712
	v_mul_f32_dpp v140, v18, v140 row_newbcast:4 row_mask:0xf bank_mask:0xf// 0000000050AC: 0B1918FA FF015412
	v_mul_f32_dpp v141, v18, v141 row_newbcast:5 row_mask:0xf bank_mask:0xf// 0000000050B4: 0B1B1AFA FF015512
	v_mul_f32_dpp v142, v18, v142 row_newbcast:6 row_mask:0xf bank_mask:0xf// 0000000050BC: 0B1D1CFA FF015612
	v_mul_f32_dpp v143, v18, v143 row_newbcast:7 row_mask:0xf bank_mask:0xf// 0000000050C4: 0B1F1EFA FF015712
	v_mul_f32_dpp v144, v18, v144 row_newbcast:8 row_mask:0xf bank_mask:0xf// 0000000050CC: 0B2120FA FF015812
	v_mul_f32_dpp v145, v18, v145 row_newbcast:9 row_mask:0xf bank_mask:0xf// 0000000050D4: 0B2322FA FF015912
	v_mul_f32_dpp v146, v18, v146 row_newbcast:10 row_mask:0xf bank_mask:0xf// 0000000050DC: 0B2524FA FF015A12
	v_mul_f32_dpp v147, v18, v147 row_newbcast:11 row_mask:0xf bank_mask:0xf// 0000000050E4: 0B2726FA FF015B12
	v_mul_f32_dpp v148, v18, v148 row_newbcast:8 row_mask:0xf bank_mask:0xf// 0000000050EC: 0B2928FA FF015812
	v_mul_f32_dpp v149, v18, v149 row_newbcast:9 row_mask:0xf bank_mask:0xf// 0000000050F4: 0B2B2AFA FF015912
	v_mul_f32_dpp v150, v18, v150 row_newbcast:10 row_mask:0xf bank_mask:0xf// 0000000050FC: 0B2D2CFA FF015A12
	v_mul_f32_dpp v151, v18, v151 row_newbcast:11 row_mask:0xf bank_mask:0xf// 000000005104: 0B2F2EFA FF015B12
	v_mul_f32_dpp v152, v18, v152 row_newbcast:12 row_mask:0xf bank_mask:0xf// 00000000510C: 0B3130FA FF015C12
	v_mul_f32_dpp v153, v18, v153 row_newbcast:13 row_mask:0xf bank_mask:0xf// 000000005114: 0B3332FA FF015D12
	v_mul_f32_dpp v154, v18, v154 row_newbcast:14 row_mask:0xf bank_mask:0xf// 00000000511C: 0B3534FA FF015E12
	v_mul_f32_dpp v155, v18, v155 row_newbcast:15 row_mask:0xf bank_mask:0xf// 000000005124: 0B3736FA FF015F12
	v_mul_f32_dpp v156, v18, v156 row_newbcast:12 row_mask:0xf bank_mask:0xf// 00000000512C: 0B3938FA FF015C12
	v_mul_f32_dpp v157, v18, v157 row_newbcast:13 row_mask:0xf bank_mask:0xf// 000000005134: 0B3B3AFA FF015D12
	v_mul_f32_dpp v158, v18, v158 row_newbcast:14 row_mask:0xf bank_mask:0xf// 00000000513C: 0B3D3CFA FF015E12
	v_mul_f32_dpp v159, v18, v159 row_newbcast:15 row_mask:0xf bank_mask:0xf// 000000005144: 0B3F3EFA FF015F12
	v_mul_f32_dpp v160, v19, v160 row_newbcast:0 row_mask:0xf bank_mask:0xf// 00000000514C: 0B4140FA FF015013
	v_mul_f32_dpp v161, v19, v161 row_newbcast:1 row_mask:0xf bank_mask:0xf// 000000005154: 0B4342FA FF015113
	v_mul_f32_dpp v162, v19, v162 row_newbcast:2 row_mask:0xf bank_mask:0xf// 00000000515C: 0B4544FA FF015213
	v_mul_f32_dpp v163, v19, v163 row_newbcast:3 row_mask:0xf bank_mask:0xf// 000000005164: 0B4746FA FF015313
	v_mul_f32_dpp v164, v19, v164 row_newbcast:0 row_mask:0xf bank_mask:0xf// 00000000516C: 0B4948FA FF015013
	v_mul_f32_dpp v165, v19, v165 row_newbcast:1 row_mask:0xf bank_mask:0xf// 000000005174: 0B4B4AFA FF015113
	v_mul_f32_dpp v166, v19, v166 row_newbcast:2 row_mask:0xf bank_mask:0xf// 00000000517C: 0B4D4CFA FF015213
	v_mul_f32_dpp v167, v19, v167 row_newbcast:3 row_mask:0xf bank_mask:0xf// 000000005184: 0B4F4EFA FF015313
	v_mul_f32_dpp v168, v19, v168 row_newbcast:4 row_mask:0xf bank_mask:0xf// 00000000518C: 0B5150FA FF015413
	v_mul_f32_dpp v169, v19, v169 row_newbcast:5 row_mask:0xf bank_mask:0xf// 000000005194: 0B5352FA FF015513
	v_mul_f32_dpp v170, v19, v170 row_newbcast:6 row_mask:0xf bank_mask:0xf// 00000000519C: 0B5554FA FF015613
	v_mul_f32_dpp v171, v19, v171 row_newbcast:7 row_mask:0xf bank_mask:0xf// 0000000051A4: 0B5756FA FF015713
	v_mul_f32_dpp v172, v19, v172 row_newbcast:4 row_mask:0xf bank_mask:0xf// 0000000051AC: 0B5958FA FF015413
	v_mul_f32_dpp v173, v19, v173 row_newbcast:5 row_mask:0xf bank_mask:0xf// 0000000051B4: 0B5B5AFA FF015513
	v_mul_f32_dpp v174, v19, v174 row_newbcast:6 row_mask:0xf bank_mask:0xf// 0000000051BC: 0B5D5CFA FF015613
	v_mul_f32_dpp v175, v19, v175 row_newbcast:7 row_mask:0xf bank_mask:0xf// 0000000051C4: 0B5F5EFA FF015713
	v_mul_f32_dpp v176, v19, v176 row_newbcast:8 row_mask:0xf bank_mask:0xf// 0000000051CC: 0B6160FA FF015813
	v_mul_f32_dpp v177, v19, v177 row_newbcast:9 row_mask:0xf bank_mask:0xf// 0000000051D4: 0B6362FA FF015913
	v_mul_f32_dpp v178, v19, v178 row_newbcast:10 row_mask:0xf bank_mask:0xf// 0000000051DC: 0B6564FA FF015A13
	v_mul_f32_dpp v179, v19, v179 row_newbcast:11 row_mask:0xf bank_mask:0xf// 0000000051E4: 0B6766FA FF015B13
	v_mul_f32_dpp v180, v19, v180 row_newbcast:8 row_mask:0xf bank_mask:0xf// 0000000051EC: 0B6968FA FF015813
	v_mul_f32_dpp v181, v19, v181 row_newbcast:9 row_mask:0xf bank_mask:0xf// 0000000051F4: 0B6B6AFA FF015913
	v_mul_f32_dpp v182, v19, v182 row_newbcast:10 row_mask:0xf bank_mask:0xf// 0000000051FC: 0B6D6CFA FF015A13
	v_mul_f32_dpp v183, v19, v183 row_newbcast:11 row_mask:0xf bank_mask:0xf// 000000005204: 0B6F6EFA FF015B13
	v_mul_f32_dpp v184, v19, v184 row_newbcast:12 row_mask:0xf bank_mask:0xf// 00000000520C: 0B7170FA FF015C13
	v_mul_f32_dpp v185, v19, v185 row_newbcast:13 row_mask:0xf bank_mask:0xf// 000000005214: 0B7372FA FF015D13
	v_mul_f32_dpp v186, v19, v186 row_newbcast:14 row_mask:0xf bank_mask:0xf// 00000000521C: 0B7574FA FF015E13
	v_mul_f32_dpp v187, v19, v187 row_newbcast:15 row_mask:0xf bank_mask:0xf// 000000005224: 0B7776FA FF015F13
	v_mul_f32_dpp v188, v19, v188 row_newbcast:12 row_mask:0xf bank_mask:0xf// 00000000522C: 0B7978FA FF015C13
	v_mul_f32_dpp v189, v19, v189 row_newbcast:13 row_mask:0xf bank_mask:0xf// 000000005234: 0B7B7AFA FF015D13
	v_mul_f32_dpp v190, v19, v190 row_newbcast:14 row_mask:0xf bank_mask:0xf// 00000000523C: 0B7D7CFA FF015E13
	v_mul_f32_dpp v191, v19, v191 row_newbcast:15 row_mask:0xf bank_mask:0xf// 000000005244: 0B7F7EFA FF015F13
	buffer_load_dword v12, v5, s[16:19], 0 offen               // 00000000524C: E0501000 80040C05
	v_mov_b32_e32 v22, 0x358637bd                              // 000000005254: 7E2C02FF 358637BD
	v_mov_b32_e32 v23, 0x358637bd                              // 00000000525C: 7E2E02FF 358637BD
	v_max3_f32 v22, |v128|, |v129|, v22                        // 000000005264: D1D30316 045B0380
	v_max3_f32 v22, |v130|, |v131|, v22                        // 00000000526C: D1D30316 045B0782
	v_max3_f32 v23, |v132|, |v133|, v23                        // 000000005274: D1D30317 045F0B84
	v_max3_f32 v23, |v134|, |v135|, v23                        // 00000000527C: D1D30317 045F0F86
	v_max3_f32 v22, |v136|, |v137|, v22                        // 000000005284: D1D30316 045B1388
	v_max3_f32 v22, |v138|, |v139|, v22                        // 00000000528C: D1D30316 045B178A
	v_max3_f32 v23, |v140|, |v141|, v23                        // 000000005294: D1D30317 045F1B8C
	v_max3_f32 v23, |v142|, |v143|, v23                        // 00000000529C: D1D30317 045F1F8E
	v_max3_f32 v22, |v144|, |v145|, v22                        // 0000000052A4: D1D30316 045B2390
	v_max3_f32 v22, |v146|, |v147|, v22                        // 0000000052AC: D1D30316 045B2792
	v_max3_f32 v23, |v148|, |v149|, v23                        // 0000000052B4: D1D30317 045F2B94
	v_max3_f32 v23, |v150|, |v151|, v23                        // 0000000052BC: D1D30317 045F2F96
	v_max3_f32 v22, |v152|, |v153|, v22                        // 0000000052C4: D1D30316 045B3398
	v_max3_f32 v22, |v154|, |v155|, v22                        // 0000000052CC: D1D30316 045B379A
	v_max3_f32 v23, |v156|, |v157|, v23                        // 0000000052D4: D1D30317 045F3B9C
	v_max3_f32 v23, |v158|, |v159|, v23                        // 0000000052DC: D1D30317 045F3F9E
	v_max3_f32 v22, |v160|, |v161|, v22                        // 0000000052E4: D1D30316 045B43A0
	v_max3_f32 v22, |v162|, |v163|, v22                        // 0000000052EC: D1D30316 045B47A2
	v_max3_f32 v23, |v164|, |v165|, v23                        // 0000000052F4: D1D30317 045F4BA4
	v_max3_f32 v23, |v166|, |v167|, v23                        // 0000000052FC: D1D30317 045F4FA6
	v_max3_f32 v22, |v168|, |v169|, v22                        // 000000005304: D1D30316 045B53A8
	v_max3_f32 v22, |v170|, |v171|, v22                        // 00000000530C: D1D30316 045B57AA
	v_max3_f32 v23, |v172|, |v173|, v23                        // 000000005314: D1D30317 045F5BAC
	v_max3_f32 v23, |v174|, |v175|, v23                        // 00000000531C: D1D30317 045F5FAE
	v_max3_f32 v22, |v176|, |v177|, v22                        // 000000005324: D1D30316 045B63B0
	v_max3_f32 v22, |v178|, |v179|, v22                        // 00000000532C: D1D30316 045B67B2
	v_max3_f32 v23, |v180|, |v181|, v23                        // 000000005334: D1D30317 045F6BB4
	v_max3_f32 v23, |v182|, |v183|, v23                        // 00000000533C: D1D30317 045F6FB6
	v_max3_f32 v22, |v184|, |v185|, v22                        // 000000005344: D1D30316 045B73B8
	v_max3_f32 v22, |v186|, |v187|, v22                        // 00000000534C: D1D30316 045B77BA
	v_max3_f32 v23, |v188|, |v189|, v23                        // 000000005354: D1D30317 045F7BBC
	v_max3_f32 v23, |v190|, |v191|, v23                        // 00000000535C: D1D30317 045F7FBE
	v_lshlrev_b32_e32 v54, 3, v0                               // 000000005364: 246C0083
	s_mul_i32 s60, 0x200, s5                                   // 000000005368: 923C05FF 00000200
	v_add_u32_e32 v54, s60, v54                                // 000000005370: 686C6C3C
	ds_write_b64 v54, v[22:23] offset:16640                    // 000000005374: D89A4100 00001636
	s_waitcnt lgkmcnt(0)                                       // 00000000537C: BF8CC07F
	s_barrier                                                  // 000000005380: BF8A0000
	v_and_b32_e32 v54, 15, v0                                  // 000000005384: 266C008F
	v_lshlrev_b32_e32 v54, 3, v54                              // 000000005388: 246C6C83
	ds_read_b64 v[96:97], v54 offset:16640                     // 00000000538C: D8EC4100 60000036
	ds_read_b64 v[98:99], v54 offset:16768                     // 000000005394: D8EC4180 62000036
	ds_read_b64 v[100:101], v54 offset:16896                   // 00000000539C: D8EC4200 64000036
	ds_read_b64 v[102:103], v54 offset:17024                   // 0000000053A4: D8EC4280 66000036
	ds_read_b64 v[104:105], v54 offset:17152                   // 0000000053AC: D8EC4300 68000036
	ds_read_b64 v[106:107], v54 offset:17280                   // 0000000053B4: D8EC4380 6A000036
	ds_read_b64 v[108:109], v54 offset:17408                   // 0000000053BC: D8EC4400 6C000036
	ds_read_b64 v[110:111], v54 offset:17536                   // 0000000053C4: D8EC4480 6E000036
	ds_read_b64 v[112:113], v54 offset:17664                   // 0000000053CC: D8EC4500 70000036
	ds_read_b64 v[114:115], v54 offset:17792                   // 0000000053D4: D8EC4580 72000036
	ds_read_b64 v[116:117], v54 offset:17920                   // 0000000053DC: D8EC4600 74000036
	ds_read_b64 v[118:119], v54 offset:18048                   // 0000000053E4: D8EC4680 76000036
	ds_read_b64 v[120:121], v54 offset:18176                   // 0000000053EC: D8EC4700 78000036
	ds_read_b64 v[122:123], v54 offset:18304                   // 0000000053F4: D8EC4780 7A000036
	ds_read_b64 v[124:125], v54 offset:18432                   // 0000000053FC: D8EC4800 7C000036
	ds_read_b64 v[126:127], v54 offset:18560                   // 000000005404: D8EC4880 7E000036
	s_waitcnt lgkmcnt(0)                                       // 00000000540C: BF8CC07F
	v_max3_f32 v22, |v96|, |v98|, v22                          // 000000005410: D1D30316 045AC560
	v_max3_f32 v23, |v97|, |v99|, v23                          // 000000005418: D1D30317 045EC761
	v_max3_f32 v22, |v100|, |v102|, v22                        // 000000005420: D1D30316 045ACD64
	v_max3_f32 v23, |v101|, |v103|, v23                        // 000000005428: D1D30317 045ECF65
	v_max3_f32 v22, |v104|, |v106|, v22                        // 000000005430: D1D30316 045AD568
	v_max3_f32 v23, |v105|, |v107|, v23                        // 000000005438: D1D30317 045ED769
	v_max3_f32 v22, |v108|, |v110|, v22                        // 000000005440: D1D30316 045ADD6C
	v_max3_f32 v23, |v109|, |v111|, v23                        // 000000005448: D1D30317 045EDF6D
	v_max3_f32 v22, |v112|, |v114|, v22                        // 000000005450: D1D30316 045AE570
	v_max3_f32 v23, |v113|, |v115|, v23                        // 000000005458: D1D30317 045EE771
	v_max3_f32 v22, |v116|, |v118|, v22                        // 000000005460: D1D30316 045AED74
	v_max3_f32 v23, |v117|, |v119|, v23                        // 000000005468: D1D30317 045EEF75
	v_max3_f32 v22, |v120|, |v122|, v22                        // 000000005470: D1D30316 045AF578
	v_max3_f32 v23, |v121|, |v123|, v23                        // 000000005478: D1D30317 045EF779
	v_max3_f32 v22, |v124|, |v126|, v22                        // 000000005480: D1D30316 045AFD7C
	v_max3_f32 v23, |v125|, |v127|, v23                        // 000000005488: D1D30317 045EFF7D
	v_rcp_f32_e32 v22, v22                                     // 000000005490: 7E2C4516
	v_rcp_f32_e32 v23, v23                                     // 000000005494: 7E2E4517
	v_mul_f32_e32 v22, 0x42fe0000, v22                         // 000000005498: 0A2C2CFF 42FE0000
	v_mul_f32_e32 v23, 0x42fe0000, v23                         // 0000000054A0: 0A2E2EFF 42FE0000
	v_mul_f32_e32 v128, v22, v128                              // 0000000054A8: 0B010116
	v_mul_f32_e32 v129, v22, v129                              // 0000000054AC: 0B030316
	v_mul_f32_e32 v130, v22, v130                              // 0000000054B0: 0B050516
	v_mul_f32_e32 v131, v22, v131                              // 0000000054B4: 0B070716
	v_cvt_i32_f32_e32 v128, v128                               // 0000000054B8: 7F001180
	v_cvt_i32_f32_e32 v129, v129                               // 0000000054BC: 7F021181
	v_cvt_i32_f32_e32 v130, v130                               // 0000000054C0: 7F041182
	v_cvt_i32_f32_e32 v131, v131                               // 0000000054C4: 7F061183
	v_perm_b32 v128, v129, v128, s53                           // 0000000054C8: D1ED0080 00D70181
	v_perm_b32 v128, v130, v128, s54                           // 0000000054D0: D1ED0080 00DB0182
	v_perm_b32 v128, v131, v128, s55                           // 0000000054D8: D1ED0080 00DF0183
	v_mul_f32_e32 v132, v23, v132                              // 0000000054E0: 0B090917
	v_mul_f32_e32 v133, v23, v133                              // 0000000054E4: 0B0B0B17
	v_mul_f32_e32 v134, v23, v134                              // 0000000054E8: 0B0D0D17
	v_mul_f32_e32 v135, v23, v135                              // 0000000054EC: 0B0F0F17
	v_cvt_i32_f32_e32 v132, v132                               // 0000000054F0: 7F081184
	v_cvt_i32_f32_e32 v133, v133                               // 0000000054F4: 7F0A1185
	v_cvt_i32_f32_e32 v134, v134                               // 0000000054F8: 7F0C1186
	v_cvt_i32_f32_e32 v135, v135                               // 0000000054FC: 7F0E1187
	v_perm_b32 v129, v133, v132, s53                           // 000000005500: D1ED0081 00D70985
	v_perm_b32 v129, v134, v129, s54                           // 000000005508: D1ED0081 00DB0386
	v_perm_b32 v129, v135, v129, s55                           // 000000005510: D1ED0081 00DF0387
	v_mul_f32_e32 v136, v22, v136                              // 000000005518: 0B111116
	v_mul_f32_e32 v137, v22, v137                              // 00000000551C: 0B131316
	v_mul_f32_e32 v138, v22, v138                              // 000000005520: 0B151516
	v_mul_f32_e32 v139, v22, v139                              // 000000005524: 0B171716
	v_cvt_i32_f32_e32 v136, v136                               // 000000005528: 7F101188
	v_cvt_i32_f32_e32 v137, v137                               // 00000000552C: 7F121189
	v_cvt_i32_f32_e32 v138, v138                               // 000000005530: 7F14118A
	v_cvt_i32_f32_e32 v139, v139                               // 000000005534: 7F16118B
	v_perm_b32 v130, v137, v136, s53                           // 000000005538: D1ED0082 00D71189
	v_perm_b32 v130, v138, v130, s54                           // 000000005540: D1ED0082 00DB058A
	v_perm_b32 v130, v139, v130, s55                           // 000000005548: D1ED0082 00DF058B
	v_mul_f32_e32 v140, v23, v140                              // 000000005550: 0B191917
	v_mul_f32_e32 v141, v23, v141                              // 000000005554: 0B1B1B17
	v_mul_f32_e32 v142, v23, v142                              // 000000005558: 0B1D1D17
	v_mul_f32_e32 v143, v23, v143                              // 00000000555C: 0B1F1F17
	v_cvt_i32_f32_e32 v140, v140                               // 000000005560: 7F18118C
	v_cvt_i32_f32_e32 v141, v141                               // 000000005564: 7F1A118D
	v_cvt_i32_f32_e32 v142, v142                               // 000000005568: 7F1C118E
	v_cvt_i32_f32_e32 v143, v143                               // 00000000556C: 7F1E118F
	v_perm_b32 v131, v141, v140, s53                           // 000000005570: D1ED0083 00D7198D
	v_perm_b32 v131, v142, v131, s54                           // 000000005578: D1ED0083 00DB078E
	v_perm_b32 v131, v143, v131, s55                           // 000000005580: D1ED0083 00DF078F
	v_mul_f32_e32 v144, v22, v144                              // 000000005588: 0B212116
	v_mul_f32_e32 v145, v22, v145                              // 00000000558C: 0B232316
	v_mul_f32_e32 v146, v22, v146                              // 000000005590: 0B252516
	v_mul_f32_e32 v147, v22, v147                              // 000000005594: 0B272716
	v_cvt_i32_f32_e32 v144, v144                               // 000000005598: 7F201190
	v_cvt_i32_f32_e32 v145, v145                               // 00000000559C: 7F221191
	v_cvt_i32_f32_e32 v146, v146                               // 0000000055A0: 7F241192
	v_cvt_i32_f32_e32 v147, v147                               // 0000000055A4: 7F261193
	v_perm_b32 v132, v145, v144, s53                           // 0000000055A8: D1ED0084 00D72191
	v_perm_b32 v132, v146, v132, s54                           // 0000000055B0: D1ED0084 00DB0992
	v_perm_b32 v132, v147, v132, s55                           // 0000000055B8: D1ED0084 00DF0993
	v_mul_f32_e32 v148, v23, v148                              // 0000000055C0: 0B292917
	v_mul_f32_e32 v149, v23, v149                              // 0000000055C4: 0B2B2B17
	v_mul_f32_e32 v150, v23, v150                              // 0000000055C8: 0B2D2D17
	v_mul_f32_e32 v151, v23, v151                              // 0000000055CC: 0B2F2F17
	v_cvt_i32_f32_e32 v148, v148                               // 0000000055D0: 7F281194
	v_cvt_i32_f32_e32 v149, v149                               // 0000000055D4: 7F2A1195
	v_cvt_i32_f32_e32 v150, v150                               // 0000000055D8: 7F2C1196
	v_cvt_i32_f32_e32 v151, v151                               // 0000000055DC: 7F2E1197
	v_perm_b32 v133, v149, v148, s53                           // 0000000055E0: D1ED0085 00D72995
	v_perm_b32 v133, v150, v133, s54                           // 0000000055E8: D1ED0085 00DB0B96
	v_perm_b32 v133, v151, v133, s55                           // 0000000055F0: D1ED0085 00DF0B97
	v_mul_f32_e32 v152, v22, v152                              // 0000000055F8: 0B313116
	v_mul_f32_e32 v153, v22, v153                              // 0000000055FC: 0B333316
	v_mul_f32_e32 v154, v22, v154                              // 000000005600: 0B353516
	v_mul_f32_e32 v155, v22, v155                              // 000000005604: 0B373716
	v_cvt_i32_f32_e32 v152, v152                               // 000000005608: 7F301198
	v_cvt_i32_f32_e32 v153, v153                               // 00000000560C: 7F321199
	v_cvt_i32_f32_e32 v154, v154                               // 000000005610: 7F34119A
	v_cvt_i32_f32_e32 v155, v155                               // 000000005614: 7F36119B
	v_perm_b32 v134, v153, v152, s53                           // 000000005618: D1ED0086 00D73199
	v_perm_b32 v134, v154, v134, s54                           // 000000005620: D1ED0086 00DB0D9A
	v_perm_b32 v134, v155, v134, s55                           // 000000005628: D1ED0086 00DF0D9B
	v_mul_f32_e32 v156, v23, v156                              // 000000005630: 0B393917
	v_mul_f32_e32 v157, v23, v157                              // 000000005634: 0B3B3B17
	v_mul_f32_e32 v158, v23, v158                              // 000000005638: 0B3D3D17
	v_mul_f32_e32 v159, v23, v159                              // 00000000563C: 0B3F3F17
	v_cvt_i32_f32_e32 v156, v156                               // 000000005640: 7F38119C
	v_cvt_i32_f32_e32 v157, v157                               // 000000005644: 7F3A119D
	v_cvt_i32_f32_e32 v158, v158                               // 000000005648: 7F3C119E
	v_cvt_i32_f32_e32 v159, v159                               // 00000000564C: 7F3E119F
	v_perm_b32 v135, v157, v156, s53                           // 000000005650: D1ED0087 00D7399D
	v_perm_b32 v135, v158, v135, s54                           // 000000005658: D1ED0087 00DB0F9E
	v_perm_b32 v135, v159, v135, s55                           // 000000005660: D1ED0087 00DF0F9F
	v_mul_f32_e32 v160, v22, v160                              // 000000005668: 0B414116
	v_mul_f32_e32 v161, v22, v161                              // 00000000566C: 0B434316
	v_mul_f32_e32 v162, v22, v162                              // 000000005670: 0B454516
	v_mul_f32_e32 v163, v22, v163                              // 000000005674: 0B474716
	v_cvt_i32_f32_e32 v160, v160                               // 000000005678: 7F4011A0
	v_cvt_i32_f32_e32 v161, v161                               // 00000000567C: 7F4211A1
	v_cvt_i32_f32_e32 v162, v162                               // 000000005680: 7F4411A2
	v_cvt_i32_f32_e32 v163, v163                               // 000000005684: 7F4611A3
	v_perm_b32 v136, v161, v160, s53                           // 000000005688: D1ED0088 00D741A1
	v_perm_b32 v136, v162, v136, s54                           // 000000005690: D1ED0088 00DB11A2
	v_perm_b32 v136, v163, v136, s55                           // 000000005698: D1ED0088 00DF11A3
	v_mul_f32_e32 v164, v23, v164                              // 0000000056A0: 0B494917
	v_mul_f32_e32 v165, v23, v165                              // 0000000056A4: 0B4B4B17
	v_mul_f32_e32 v166, v23, v166                              // 0000000056A8: 0B4D4D17
	v_mul_f32_e32 v167, v23, v167                              // 0000000056AC: 0B4F4F17
	v_cvt_i32_f32_e32 v164, v164                               // 0000000056B0: 7F4811A4
	v_cvt_i32_f32_e32 v165, v165                               // 0000000056B4: 7F4A11A5
	v_cvt_i32_f32_e32 v166, v166                               // 0000000056B8: 7F4C11A6
	v_cvt_i32_f32_e32 v167, v167                               // 0000000056BC: 7F4E11A7
	v_perm_b32 v137, v165, v164, s53                           // 0000000056C0: D1ED0089 00D749A5
	v_perm_b32 v137, v166, v137, s54                           // 0000000056C8: D1ED0089 00DB13A6
	v_perm_b32 v137, v167, v137, s55                           // 0000000056D0: D1ED0089 00DF13A7
	v_mul_f32_e32 v168, v22, v168                              // 0000000056D8: 0B515116
	v_mul_f32_e32 v169, v22, v169                              // 0000000056DC: 0B535316
	v_mul_f32_e32 v170, v22, v170                              // 0000000056E0: 0B555516
	v_mul_f32_e32 v171, v22, v171                              // 0000000056E4: 0B575716
	v_cvt_i32_f32_e32 v168, v168                               // 0000000056E8: 7F5011A8
	v_cvt_i32_f32_e32 v169, v169                               // 0000000056EC: 7F5211A9
	v_cvt_i32_f32_e32 v170, v170                               // 0000000056F0: 7F5411AA
	v_cvt_i32_f32_e32 v171, v171                               // 0000000056F4: 7F5611AB
	v_perm_b32 v138, v169, v168, s53                           // 0000000056F8: D1ED008A 00D751A9
	v_perm_b32 v138, v170, v138, s54                           // 000000005700: D1ED008A 00DB15AA
	v_perm_b32 v138, v171, v138, s55                           // 000000005708: D1ED008A 00DF15AB
	v_mul_f32_e32 v172, v23, v172                              // 000000005710: 0B595917
	v_mul_f32_e32 v173, v23, v173                              // 000000005714: 0B5B5B17
	v_mul_f32_e32 v174, v23, v174                              // 000000005718: 0B5D5D17
	v_mul_f32_e32 v175, v23, v175                              // 00000000571C: 0B5F5F17
	v_cvt_i32_f32_e32 v172, v172                               // 000000005720: 7F5811AC
	v_cvt_i32_f32_e32 v173, v173                               // 000000005724: 7F5A11AD
	v_cvt_i32_f32_e32 v174, v174                               // 000000005728: 7F5C11AE
	v_cvt_i32_f32_e32 v175, v175                               // 00000000572C: 7F5E11AF
	v_perm_b32 v139, v173, v172, s53                           // 000000005730: D1ED008B 00D759AD
	v_perm_b32 v139, v174, v139, s54                           // 000000005738: D1ED008B 00DB17AE
	v_perm_b32 v139, v175, v139, s55                           // 000000005740: D1ED008B 00DF17AF
	v_mul_f32_e32 v176, v22, v176                              // 000000005748: 0B616116
	v_mul_f32_e32 v177, v22, v177                              // 00000000574C: 0B636316
	v_mul_f32_e32 v178, v22, v178                              // 000000005750: 0B656516
	v_mul_f32_e32 v179, v22, v179                              // 000000005754: 0B676716
	v_cvt_i32_f32_e32 v176, v176                               // 000000005758: 7F6011B0
	v_cvt_i32_f32_e32 v177, v177                               // 00000000575C: 7F6211B1
	v_cvt_i32_f32_e32 v178, v178                               // 000000005760: 7F6411B2
	v_cvt_i32_f32_e32 v179, v179                               // 000000005764: 7F6611B3
	v_perm_b32 v140, v177, v176, s53                           // 000000005768: D1ED008C 00D761B1
	v_perm_b32 v140, v178, v140, s54                           // 000000005770: D1ED008C 00DB19B2
	v_perm_b32 v140, v179, v140, s55                           // 000000005778: D1ED008C 00DF19B3
	v_mul_f32_e32 v180, v23, v180                              // 000000005780: 0B696917
	v_mul_f32_e32 v181, v23, v181                              // 000000005784: 0B6B6B17
	v_mul_f32_e32 v182, v23, v182                              // 000000005788: 0B6D6D17
	v_mul_f32_e32 v183, v23, v183                              // 00000000578C: 0B6F6F17
	v_cvt_i32_f32_e32 v180, v180                               // 000000005790: 7F6811B4
	v_cvt_i32_f32_e32 v181, v181                               // 000000005794: 7F6A11B5
	v_cvt_i32_f32_e32 v182, v182                               // 000000005798: 7F6C11B6
	v_cvt_i32_f32_e32 v183, v183                               // 00000000579C: 7F6E11B7
	v_perm_b32 v141, v181, v180, s53                           // 0000000057A0: D1ED008D 00D769B5
	v_perm_b32 v141, v182, v141, s54                           // 0000000057A8: D1ED008D 00DB1BB6
	v_perm_b32 v141, v183, v141, s55                           // 0000000057B0: D1ED008D 00DF1BB7
	v_mul_f32_e32 v184, v22, v184                              // 0000000057B8: 0B717116
	v_mul_f32_e32 v185, v22, v185                              // 0000000057BC: 0B737316
	v_mul_f32_e32 v186, v22, v186                              // 0000000057C0: 0B757516
	v_mul_f32_e32 v187, v22, v187                              // 0000000057C4: 0B777716
	v_cvt_i32_f32_e32 v184, v184                               // 0000000057C8: 7F7011B8
	v_cvt_i32_f32_e32 v185, v185                               // 0000000057CC: 7F7211B9
	v_cvt_i32_f32_e32 v186, v186                               // 0000000057D0: 7F7411BA
	v_cvt_i32_f32_e32 v187, v187                               // 0000000057D4: 7F7611BB
	v_perm_b32 v142, v185, v184, s53                           // 0000000057D8: D1ED008E 00D771B9
	v_perm_b32 v142, v186, v142, s54                           // 0000000057E0: D1ED008E 00DB1DBA
	v_perm_b32 v142, v187, v142, s55                           // 0000000057E8: D1ED008E 00DF1DBB
	v_mul_f32_e32 v188, v23, v188                              // 0000000057F0: 0B797917
	v_mul_f32_e32 v189, v23, v189                              // 0000000057F4: 0B7B7B17
	v_mul_f32_e32 v190, v23, v190                              // 0000000057F8: 0B7D7D17
	v_mul_f32_e32 v191, v23, v191                              // 0000000057FC: 0B7F7F17
	v_cvt_i32_f32_e32 v188, v188                               // 000000005800: 7F7811BC
	v_cvt_i32_f32_e32 v189, v189                               // 000000005804: 7F7A11BD
	v_cvt_i32_f32_e32 v190, v190                               // 000000005808: 7F7C11BE
	v_cvt_i32_f32_e32 v191, v191                               // 00000000580C: 7F7E11BF
	v_perm_b32 v143, v189, v188, s53                           // 000000005810: D1ED008F 00D779BD
	v_perm_b32 v143, v190, v143, s54                           // 000000005818: D1ED008F 00DB1FBE
	v_perm_b32 v143, v191, v143, s55                           // 000000005820: D1ED008F 00DF1FBF
	v_rcp_f32_e32 v24, v22                                     // 000000005828: 7E304516
	v_rcp_f32_e32 v25, v23                                     // 00000000582C: 7E324517
	v_lshrrev_b32_e32 v54, 5, v0                               // 000000005830: 206C0085
	v_lshlrev_b32_e32 v55, 5, v54                              // 000000005834: 246E6C85
	v_and_b32_e32 v54, 31, v0                                  // 000000005838: 266C009F
	v_lshrrev_b32_e32 v56, 4, v54                              // 00000000583C: 20706C84
	v_add_u32_e32 v55, v56, v55                                // 000000005840: 686E6F38
	v_and_b32_e32 v54, 15, v0                                  // 000000005844: 266C008F
	v_lshlrev_b32_e32 v54, 1, v54                              // 000000005848: 246C6C81
	v_add_u32_e32 v55, v54, v55                                // 00000000584C: 686E6F36
	v_lshlrev_b32_e32 v54, 2, v55                              // 000000005850: 246C6E82
	s_mul_i32 s60, 0x100, s5                                   // 000000005854: 923C05FF 00000100
	v_add_u32_e64 v54, v54, s60                                // 00000000585C: D1340036 00007936
	ds_write_b32 v54, v128 offset:18688                        // 000000005864: D81A4900 00008036
	ds_write_b32 v54, v129 offset:26880                        // 00000000586C: D81A6900 00008136
	ds_write_b32 v54, v130 offset:19712                        // 000000005874: D81A4D00 00008236
	ds_write_b32 v54, v131 offset:27904                        // 00000000587C: D81A6D00 00008336
	ds_write_b32 v54, v132 offset:20736                        // 000000005884: D81A5100 00008436
	ds_write_b32 v54, v133 offset:28928                        // 00000000588C: D81A7100 00008536
	ds_write_b32 v54, v134 offset:21760                        // 000000005894: D81A5500 00008636
	ds_write_b32 v54, v135 offset:29952                        // 00000000589C: D81A7500 00008736
	ds_write_b32 v54, v136 offset:22784                        // 0000000058A4: D81A5900 00008836
	ds_write_b32 v54, v137 offset:30976                        // 0000000058AC: D81A7900 00008936
	ds_write_b32 v54, v138 offset:23808                        // 0000000058B4: D81A5D00 00008A36
	ds_write_b32 v54, v139 offset:32000                        // 0000000058BC: D81A7D00 00008B36
	ds_write_b32 v54, v140 offset:24832                        // 0000000058C4: D81A6100 00008C36
	ds_write_b32 v54, v141 offset:33024                        // 0000000058CC: D81A8100 00008D36
	ds_write_b32 v54, v142 offset:25856                        // 0000000058D4: D81A6500 00008E36
	ds_write_b32 v54, v143 offset:34048                        // 0000000058DC: D81A8500 00008F36
	s_waitcnt lgkmcnt(0)                                       // 0000000058E4: BF8CC07F
	s_barrier                                                  // 0000000058E8: BF8A0000
	v_lshrrev_b32_e32 v54, 4, v0                               // 0000000058EC: 206C0084
	v_lshlrev_b32_e32 v55, 6, v54                              // 0000000058F0: 246E6C86
	v_and_b32_e32 v54, 15, v0                                  // 0000000058F4: 266C008F
	v_lshlrev_b32_e32 v54, 1, v54                              // 0000000058F8: 246C6C81
	v_add_u32_e32 v55, v54, v55                                // 0000000058FC: 686E6F36
	v_lshlrev_b32_e32 v54, 2, v55                              // 000000005900: 246C6E82
	ds_read_b64 v[128:129], v54 offset:18688                   // 000000005904: D8EC4900 80000036
	ds_read_b64 v[130:131], v54 offset:18816                   // 00000000590C: D8EC4980 82000036
	ds_read_b64 v[132:133], v54 offset:19712                   // 000000005914: D8EC4D00 84000036
	ds_read_b64 v[134:135], v54 offset:19840                   // 00000000591C: D8EC4D80 86000036
	ds_read_b64 v[136:137], v54 offset:20736                   // 000000005924: D8EC5100 88000036
	ds_read_b64 v[138:139], v54 offset:20864                   // 00000000592C: D8EC5180 8A000036
	ds_read_b64 v[140:141], v54 offset:21760                   // 000000005934: D8EC5500 8C000036
	ds_read_b64 v[142:143], v54 offset:21888                   // 00000000593C: D8EC5580 8E000036
	ds_read_b64 v[144:145], v54 offset:22784                   // 000000005944: D8EC5900 90000036
	ds_read_b64 v[146:147], v54 offset:22912                   // 00000000594C: D8EC5980 92000036
	ds_read_b64 v[148:149], v54 offset:23808                   // 000000005954: D8EC5D00 94000036
	ds_read_b64 v[150:151], v54 offset:23936                   // 00000000595C: D8EC5D80 96000036
	ds_read_b64 v[152:153], v54 offset:24832                   // 000000005964: D8EC6100 98000036
	ds_read_b64 v[154:155], v54 offset:24960                   // 00000000596C: D8EC6180 9A000036
	ds_read_b64 v[156:157], v54 offset:25856                   // 000000005974: D8EC6500 9C000036
	ds_read_b64 v[158:159], v54 offset:25984                   // 00000000597C: D8EC6580 9E000036
	ds_read_b64 v[160:161], v54 offset:26880                   // 000000005984: D8EC6900 A0000036
	ds_read_b64 v[162:163], v54 offset:27008                   // 00000000598C: D8EC6980 A2000036
	ds_read_b64 v[164:165], v54 offset:27904                   // 000000005994: D8EC6D00 A4000036
	ds_read_b64 v[166:167], v54 offset:28032                   // 00000000599C: D8EC6D80 A6000036
	ds_read_b64 v[168:169], v54 offset:28928                   // 0000000059A4: D8EC7100 A8000036
	ds_read_b64 v[170:171], v54 offset:29056                   // 0000000059AC: D8EC7180 AA000036
	ds_read_b64 v[172:173], v54 offset:29952                   // 0000000059B4: D8EC7500 AC000036
	ds_read_b64 v[174:175], v54 offset:30080                   // 0000000059BC: D8EC7580 AE000036
	ds_read_b64 v[176:177], v54 offset:30976                   // 0000000059C4: D8EC7900 B0000036
	ds_read_b64 v[178:179], v54 offset:31104                   // 0000000059CC: D8EC7980 B2000036
	ds_read_b64 v[180:181], v54 offset:32000                   // 0000000059D4: D8EC7D00 B4000036
	ds_read_b64 v[182:183], v54 offset:32128                   // 0000000059DC: D8EC7D80 B6000036
	ds_read_b64 v[184:185], v54 offset:33024                   // 0000000059E4: D8EC8100 B8000036
	ds_read_b64 v[186:187], v54 offset:33152                   // 0000000059EC: D8EC8180 BA000036
	ds_read_b64 v[188:189], v54 offset:34048                   // 0000000059F4: D8EC8500 BC000036
	ds_read_b64 v[190:191], v54 offset:34176                   // 0000000059FC: D8EC8580 BE000036
	s_add_u32 s12, s56, s12                                    // 000000005A04: 800C0C38
	s_addc_u32 s13, 0, s13                                     // 000000005A08: 820D0D80
	s_add_u32 s16, s79, s16                                    // 000000005A0C: 8010104F
	s_addc_u32 s17, 0, s17                                     // 000000005A10: 82111180
	s_waitcnt lgkmcnt(0)                                       // 000000005A14: BF8CC07F
	s_barrier                                                  // 000000005A18: BF8A0000
	v_mov_b32_e32 v192, 0                                      // 000000005A1C: 7F800280
	v_mov_b32_e32 v224, 0                                      // 000000005A20: 7FC00280
	v_mov_b32_e32 v193, 0                                      // 000000005A24: 7F820280
	v_mov_b32_e32 v225, 0                                      // 000000005A28: 7FC20280
	v_mov_b32_e32 v194, 0                                      // 000000005A2C: 7F840280
	v_mov_b32_e32 v226, 0                                      // 000000005A30: 7FC40280
	v_mov_b32_e32 v195, 0                                      // 000000005A34: 7F860280
	v_mov_b32_e32 v227, 0                                      // 000000005A38: 7FC60280
	v_mov_b32_e32 v196, 0                                      // 000000005A3C: 7F880280
	v_mov_b32_e32 v228, 0                                      // 000000005A40: 7FC80280
	v_mov_b32_e32 v197, 0                                      // 000000005A44: 7F8A0280
	v_mov_b32_e32 v229, 0                                      // 000000005A48: 7FCA0280
	v_mov_b32_e32 v198, 0                                      // 000000005A4C: 7F8C0280
	v_mov_b32_e32 v230, 0                                      // 000000005A50: 7FCC0280
	v_mov_b32_e32 v199, 0                                      // 000000005A54: 7F8E0280
	v_mov_b32_e32 v231, 0                                      // 000000005A58: 7FCE0280
	v_mov_b32_e32 v200, 0                                      // 000000005A5C: 7F900280
	v_mov_b32_e32 v232, 0                                      // 000000005A60: 7FD00280
	v_mov_b32_e32 v201, 0                                      // 000000005A64: 7F920280
	v_mov_b32_e32 v233, 0                                      // 000000005A68: 7FD20280
	v_mov_b32_e32 v202, 0                                      // 000000005A6C: 7F940280
	v_mov_b32_e32 v234, 0                                      // 000000005A70: 7FD40280
	v_mov_b32_e32 v203, 0                                      // 000000005A74: 7F960280
	v_mov_b32_e32 v235, 0                                      // 000000005A78: 7FD60280
	v_mov_b32_e32 v204, 0                                      // 000000005A7C: 7F980280
	v_mov_b32_e32 v236, 0                                      // 000000005A80: 7FD80280
	v_mov_b32_e32 v205, 0                                      // 000000005A84: 7F9A0280
	v_mov_b32_e32 v237, 0                                      // 000000005A88: 7FDA0280
	v_mov_b32_e32 v206, 0                                      // 000000005A8C: 7F9C0280
	v_mov_b32_e32 v238, 0                                      // 000000005A90: 7FDC0280
	v_mov_b32_e32 v207, 0                                      // 000000005A94: 7F9E0280
	v_mov_b32_e32 v239, 0                                      // 000000005A98: 7FDE0280
	ds_write_b64 v3, v[192:193] offset:18688                   // 000000005A9C: D89A4900 0000C003
	ds_write_b64 v3, v[194:195] offset:27392                   // 000000005AA4: D89A6B00 0000C203
	ds_write_b64 v3, v[196:197] offset:20864                   // 000000005AAC: D89A5180 0000C403
	ds_write_b64 v3, v[198:199] offset:29568                   // 000000005AB4: D89A7380 0000C603
	ds_write_b64 v3, v[200:201] offset:23040                   // 000000005ABC: D89A5A00 0000C803
	ds_write_b64 v3, v[202:203] offset:31744                   // 000000005AC4: D89A7C00 0000CA03
	ds_write_b64 v3, v[204:205] offset:25216                   // 000000005ACC: D89A6280 0000CC03
	ds_write_b64 v3, v[206:207] offset:33920                   // 000000005AD4: D89A8480 0000CE03
	s_mov_b32 s80, 0                                           // 000000005ADC: BED00080
	s_waitcnt vmcnt(0) expcnt(0) lgkmcnt(0)                    // 000000005AE0: BF8C0000

0000000000005ae4 <label_0BF9>:
	s_waitcnt vmcnt(25) lgkmcnt(0)                             // 000000005AE4: BF8C4079
	s_barrier                                                  // 000000005AE8: BF8A0000
	v_mfma_i32_16x16x32_i8 v[192:195], a[0:1], v[128:129], 0   // 000000005AEC: D3D700C0 0A030100
	ds_read_b32 v64, v4 offset:18688                           // 000000005AF4: D86C4900 40000004
	ds_read_b32 v65, v4 offset:23040                           // 000000005AFC: D86C5A00 41000004
	v_mfma_i32_16x16x32_i8 v[192:195], a[2:3], v[130:131], v[192:195]// 000000005B04: D3D700C0 0F030502
	buffer_load_dwordx4 a[128:131], v42, s[12:15], 0 offen     // 000000005B0C: E05C1000 8083802A
	v_mfma_i32_16x16x32_i8 v[192:195], a[4:5], v[132:133], v[192:195]// 000000005B14: D3D700C0 0F030904
	ds_read_b32 v66, v4 offset:18720                           // 000000005B1C: D86C4920 42000004
	ds_read_b32 v67, v4 offset:23072                           // 000000005B24: D86C5A20 43000004
	v_mfma_i32_16x16x32_i8 v[192:195], a[6:7], v[134:135], v[192:195]// 000000005B2C: D3D700C0 0F030D06
	v_mfma_i32_16x16x32_i8 v[192:195], a[8:9], v[136:137], v[192:195]// 000000005B34: D3D700C0 0F031108
	ds_read_b32 v68, v4 offset:18752                           // 000000005B3C: D86C4940 44000004
	ds_read_b32 v69, v4 offset:23104                           // 000000005B44: D86C5A40 45000004
	v_mfma_i32_16x16x32_i8 v[192:195], a[10:11], v[138:139], v[192:195]// 000000005B4C: D3D700C0 0F03150A
	buffer_load_dwordx4 a[132:135], v42, s[12:15], 0 offen offset:1024// 000000005B54: E05C1400 8083842A
	v_mfma_i32_16x16x32_i8 v[192:195], a[12:13], v[140:141], v[192:195]// 000000005B5C: D3D700C0 0F03190C
	ds_read_b32 v70, v4 offset:18784                           // 000000005B64: D86C4960 46000004
	ds_read_b32 v71, v4 offset:23136                           // 000000005B6C: D86C5A60 47000004
	v_mfma_i32_16x16x32_i8 v[192:195], a[14:15], v[142:143], v[192:195]// 000000005B74: D3D700C0 0F031D0E
	v_mfma_i32_16x16x32_i8 v[196:199], a[0:1], v[160:161], 0   // 000000005B7C: D3D700C4 0A034100
	ds_read_b32 v72, v4 offset:27392                           // 000000005B84: D86C6B00 48000004
	ds_read_b32 v73, v4 offset:31744                           // 000000005B8C: D86C7C00 49000004
	v_mfma_i32_16x16x32_i8 v[196:199], a[2:3], v[162:163], v[196:199]// 000000005B94: D3D700C4 0F134502
	buffer_load_dwordx4 a[136:139], v42, s[12:15], 0 offen offset:2048// 000000005B9C: E05C1800 8083882A
	v_mfma_i32_16x16x32_i8 v[196:199], a[4:5], v[164:165], v[196:199]// 000000005BA4: D3D700C4 0F134904
	ds_read_b32 v74, v4 offset:27424                           // 000000005BAC: D86C6B20 4A000004
	ds_read_b32 v75, v4 offset:31776                           // 000000005BB4: D86C7C20 4B000004
	v_mfma_i32_16x16x32_i8 v[196:199], a[6:7], v[166:167], v[196:199]// 000000005BBC: D3D700C4 0F134D06
	v_mfma_i32_16x16x32_i8 v[196:199], a[8:9], v[168:169], v[196:199]// 000000005BC4: D3D700C4 0F135108
	ds_read_b32 v76, v4 offset:27456                           // 000000005BCC: D86C6B40 4C000004
	ds_read_b32 v77, v4 offset:31808                           // 000000005BD4: D86C7C40 4D000004
	v_mfma_i32_16x16x32_i8 v[196:199], a[10:11], v[170:171], v[196:199]// 000000005BDC: D3D700C4 0F13550A
	buffer_load_dwordx4 a[140:143], v42, s[12:15], 0 offen offset:3072// 000000005BE4: E05C1C00 80838C2A
	v_mfma_i32_16x16x32_i8 v[196:199], a[12:13], v[172:173], v[196:199]// 000000005BEC: D3D700C4 0F13590C
	ds_read_b32 v78, v4 offset:27488                           // 000000005BF4: D86C6B60 4E000004
	ds_read_b32 v79, v4 offset:31840                           // 000000005BFC: D86C7C60 4F000004
	v_mfma_i32_16x16x32_i8 v[196:199], a[14:15], v[174:175], v[196:199]// 000000005C04: D3D700C4 0F135D0E
	v_mfma_i32_16x16x32_i8 v[200:203], a[16:17], v[128:129], 0 // 000000005C0C: D3D700C8 0A030110
	v_mfma_i32_16x16x32_i8 v[200:203], a[18:19], v[130:131], v[200:203]// 000000005C14: D3D700C8 0F230512
	buffer_load_dwordx4 a[144:147], v43, s[12:15], 0 offen     // 000000005C1C: E05C1000 8083902B
	v_mfma_i32_16x16x32_i8 v[200:203], a[20:21], v[132:133], v[200:203]// 000000005C24: D3D700C8 0F230914
	v_mfma_i32_16x16x32_i8 v[200:203], a[22:23], v[134:135], v[200:203]// 000000005C2C: D3D700C8 0F230D16
	v_mfma_i32_16x16x32_i8 v[200:203], a[24:25], v[136:137], v[200:203]// 000000005C34: D3D700C8 0F231118
	v_mfma_i32_16x16x32_i8 v[200:203], a[26:27], v[138:139], v[200:203]// 000000005C3C: D3D700C8 0F23151A
	buffer_load_dwordx4 a[148:151], v43, s[12:15], 0 offen offset:1024// 000000005C44: E05C1400 8083942B
	v_mfma_i32_16x16x32_i8 v[200:203], a[28:29], v[140:141], v[200:203]// 000000005C4C: D3D700C8 0F23191C
	v_mfma_i32_16x16x32_i8 v[200:203], a[30:31], v[142:143], v[200:203]// 000000005C54: D3D700C8 0F231D1E
	v_mfma_i32_16x16x32_i8 v[204:207], a[16:17], v[160:161], 0 // 000000005C5C: D3D700CC 0A034110
	v_mfma_i32_16x16x32_i8 v[204:207], a[18:19], v[162:163], v[204:207]// 000000005C64: D3D700CC 0F334512
	buffer_load_dwordx4 a[152:155], v43, s[12:15], 0 offen offset:2048// 000000005C6C: E05C1800 8083982B
	v_mfma_i32_16x16x32_i8 v[204:207], a[20:21], v[164:165], v[204:207]// 000000005C74: D3D700CC 0F334914
	v_mfma_i32_16x16x32_i8 v[204:207], a[22:23], v[166:167], v[204:207]// 000000005C7C: D3D700CC 0F334D16
	v_mfma_i32_16x16x32_i8 v[204:207], a[24:25], v[168:169], v[204:207]// 000000005C84: D3D700CC 0F335118
	v_mfma_i32_16x16x32_i8 v[204:207], a[26:27], v[170:171], v[204:207]// 000000005C8C: D3D700CC 0F33551A
	buffer_load_dwordx4 a[156:159], v43, s[12:15], 0 offen offset:3072// 000000005C94: E05C1C00 80839C2B
	v_mfma_i32_16x16x32_i8 v[204:207], a[28:29], v[172:173], v[204:207]// 000000005C9C: D3D700CC 0F33591C
	v_mfma_i32_16x16x32_i8 v[204:207], a[30:31], v[174:175], v[204:207]// 000000005CA4: D3D700CC 0F335D1E
	s_waitcnt vmcnt(25)                                        // 000000005CAC: BF8C4F79
	v_mfma_i32_16x16x32_i8 v[208:211], a[32:33], v[128:129], 0 // 000000005CB0: D3D700D0 0A030120
	v_mfma_i32_16x16x32_i8 v[208:211], a[34:35], v[130:131], v[208:211]// 000000005CB8: D3D700D0 0F430522
	buffer_load_dwordx4 a[160:163], v44, s[12:15], 0 offen     // 000000005CC0: E05C1000 8083A02C
	v_mfma_i32_16x16x32_i8 v[208:211], a[36:37], v[132:133], v[208:211]// 000000005CC8: D3D700D0 0F430924
	v_mfma_i32_16x16x32_i8 v[208:211], a[38:39], v[134:135], v[208:211]// 000000005CD0: D3D700D0 0F430D26
	v_mfma_i32_16x16x32_i8 v[208:211], a[40:41], v[136:137], v[208:211]// 000000005CD8: D3D700D0 0F431128
	v_mfma_i32_16x16x32_i8 v[208:211], a[42:43], v[138:139], v[208:211]// 000000005CE0: D3D700D0 0F43152A
	buffer_load_dwordx4 a[164:167], v44, s[12:15], 0 offen offset:1024// 000000005CE8: E05C1400 8083A42C
	v_mfma_i32_16x16x32_i8 v[208:211], a[44:45], v[140:141], v[208:211]// 000000005CF0: D3D700D0 0F43192C
	v_mfma_i32_16x16x32_i8 v[208:211], a[46:47], v[142:143], v[208:211]// 000000005CF8: D3D700D0 0F431D2E
	v_mfma_i32_16x16x32_i8 v[212:215], a[32:33], v[160:161], 0 // 000000005D00: D3D700D4 0A034120
	v_mfma_i32_16x16x32_i8 v[212:215], a[34:35], v[162:163], v[212:215]// 000000005D08: D3D700D4 0F534522
	buffer_load_dwordx4 a[168:171], v44, s[12:15], 0 offen offset:2048// 000000005D10: E05C1800 8083A82C
	v_mfma_i32_16x16x32_i8 v[212:215], a[36:37], v[164:165], v[212:215]// 000000005D18: D3D700D4 0F534924
	v_mfma_i32_16x16x32_i8 v[212:215], a[38:39], v[166:167], v[212:215]// 000000005D20: D3D700D4 0F534D26
	v_mfma_i32_16x16x32_i8 v[212:215], a[40:41], v[168:169], v[212:215]// 000000005D28: D3D700D4 0F535128
	v_mfma_i32_16x16x32_i8 v[212:215], a[42:43], v[170:171], v[212:215]// 000000005D30: D3D700D4 0F53552A
	buffer_load_dwordx4 a[172:175], v44, s[12:15], 0 offen offset:3072// 000000005D38: E05C1C00 8083AC2C
	v_mfma_i32_16x16x32_i8 v[212:215], a[44:45], v[172:173], v[212:215]// 000000005D40: D3D700D4 0F53592C
	v_mfma_i32_16x16x32_i8 v[212:215], a[46:47], v[174:175], v[212:215]// 000000005D48: D3D700D4 0F535D2E
	v_mfma_i32_16x16x32_i8 v[216:219], a[48:49], v[128:129], 0 // 000000005D50: D3D700D8 0A030130
	v_mfma_i32_16x16x32_i8 v[216:219], a[50:51], v[130:131], v[216:219]// 000000005D58: D3D700D8 0F630532
	buffer_load_dwordx4 a[176:179], v45, s[12:15], 0 offen     // 000000005D60: E05C1000 8083B02D
	v_mfma_i32_16x16x32_i8 v[216:219], a[52:53], v[132:133], v[216:219]// 000000005D68: D3D700D8 0F630934
	v_mfma_i32_16x16x32_i8 v[216:219], a[54:55], v[134:135], v[216:219]// 000000005D70: D3D700D8 0F630D36
	v_mfma_i32_16x16x32_i8 v[216:219], a[56:57], v[136:137], v[216:219]// 000000005D78: D3D700D8 0F631138
	v_mfma_i32_16x16x32_i8 v[216:219], a[58:59], v[138:139], v[216:219]// 000000005D80: D3D700D8 0F63153A
	buffer_load_dwordx4 a[180:183], v45, s[12:15], 0 offen offset:1024// 000000005D88: E05C1400 8083B42D
	v_mfma_i32_16x16x32_i8 v[216:219], a[60:61], v[140:141], v[216:219]// 000000005D90: D3D700D8 0F63193C
	v_mfma_i32_16x16x32_i8 v[216:219], a[62:63], v[142:143], v[216:219]// 000000005D98: D3D700D8 0F631D3E
	v_mfma_i32_16x16x32_i8 v[220:223], a[48:49], v[160:161], 0 // 000000005DA0: D3D700DC 0A034130
	v_mfma_i32_16x16x32_i8 v[220:223], a[50:51], v[162:163], v[220:223]// 000000005DA8: D3D700DC 0F734532
	buffer_load_dwordx4 a[184:187], v45, s[12:15], 0 offen offset:2048// 000000005DB0: E05C1800 8083B82D
	v_mfma_i32_16x16x32_i8 v[220:223], a[52:53], v[164:165], v[220:223]// 000000005DB8: D3D700DC 0F734934
	v_mfma_i32_16x16x32_i8 v[220:223], a[54:55], v[166:167], v[220:223]// 000000005DC0: D3D700DC 0F734D36
	v_mfma_i32_16x16x32_i8 v[220:223], a[56:57], v[168:169], v[220:223]// 000000005DC8: D3D700DC 0F735138
	v_mfma_i32_16x16x32_i8 v[220:223], a[58:59], v[170:171], v[220:223]// 000000005DD0: D3D700DC 0F73553A
	buffer_load_dwordx4 a[188:191], v45, s[12:15], 0 offen offset:3072// 000000005DD8: E05C1C00 8083BC2D
	s_add_u32 s12, s78, s12                                    // 000000005DE0: 800C0C4E
	s_addc_u32 s13, 0, s13                                     // 000000005DE4: 820D0D80
	v_mfma_i32_16x16x32_i8 v[220:223], a[60:61], v[172:173], v[220:223]// 000000005DE8: D3D700DC 0F73593C
	v_mfma_i32_16x16x32_i8 v[220:223], a[62:63], v[174:175], v[220:223]// 000000005DF0: D3D700DC 0F735D3E
	s_waitcnt vmcnt(25)                                        // 000000005DF8: BF8C4F79
	v_mfma_i32_16x16x32_i8 v[192:195], a[64:65], v[144:145], v[192:195]// 000000005DFC: D3D700C0 0F032140
	ds_write_b64 v3, v[224:225] offset:36096                   // 000000005E04: D89A8D00 0000E003
	v_mfma_i32_16x16x32_i8 v[192:195], a[66:67], v[146:147], v[192:195]// 000000005E0C: D3D700C0 0F032542
	buffer_load_dwordx4 a[192:195], v42, s[12:15], 0 offen     // 000000005E14: E05C1000 8083C02A
	v_mfma_i32_16x16x32_i8 v[192:195], a[68:69], v[148:149], v[192:195]// 000000005E1C: D3D700C0 0F032944
	ds_write_b64 v3, v[226:227] offset:44800                   // 000000005E24: D89AAF00 0000E203
	v_mfma_i32_16x16x32_i8 v[192:195], a[70:71], v[150:151], v[192:195]// 000000005E2C: D3D700C0 0F032D46
	v_mfma_i32_16x16x32_i8 v[192:195], a[72:73], v[152:153], v[192:195]// 000000005E34: D3D700C0 0F033148
	ds_write_b64 v3, v[228:229] offset:38272                   // 000000005E3C: D89A9580 0000E403
	v_mfma_i32_16x16x32_i8 v[192:195], a[74:75], v[154:155], v[192:195]// 000000005E44: D3D700C0 0F03354A
	buffer_load_dwordx4 a[196:199], v42, s[12:15], 0 offen offset:1024// 000000005E4C: E05C1400 8083C42A
	v_mfma_i32_16x16x32_i8 v[192:195], a[76:77], v[156:157], v[192:195]// 000000005E54: D3D700C0 0F03394C
	ds_write_b64 v3, v[230:231] offset:46976                   // 000000005E5C: D89AB780 0000E603
	v_mfma_i32_16x16x32_i8 v[192:195], a[78:79], v[158:159], v[192:195]// 000000005E64: D3D700C0 0F033D4E
	v_mfma_i32_16x16x32_i8 v[196:199], a[64:65], v[176:177], v[196:199]// 000000005E6C: D3D700C4 0F136140
	ds_write_b64 v3, v[232:233] offset:40448                   // 000000005E74: D89A9E00 0000E803
	v_mfma_i32_16x16x32_i8 v[196:199], a[66:67], v[178:179], v[196:199]// 000000005E7C: D3D700C4 0F136542
	buffer_load_dwordx4 a[200:203], v42, s[12:15], 0 offen offset:2048// 000000005E84: E05C1800 8083C82A
	v_mfma_i32_16x16x32_i8 v[196:199], a[68:69], v[180:181], v[196:199]// 000000005E8C: D3D700C4 0F136944
	ds_write_b64 v3, v[234:235] offset:49152                   // 000000005E94: D89AC000 0000EA03
	v_mfma_i32_16x16x32_i8 v[196:199], a[70:71], v[182:183], v[196:199]// 000000005E9C: D3D700C4 0F136D46
	v_mfma_i32_16x16x32_i8 v[196:199], a[72:73], v[184:185], v[196:199]// 000000005EA4: D3D700C4 0F137148
	ds_write_b64 v3, v[236:237] offset:42624                   // 000000005EAC: D89AA680 0000EC03
	v_mfma_i32_16x16x32_i8 v[196:199], a[74:75], v[186:187], v[196:199]// 000000005EB4: D3D700C4 0F13754A
	buffer_load_dwordx4 a[204:207], v42, s[12:15], 0 offen offset:3072// 000000005EBC: E05C1C00 8083CC2A
	v_mfma_i32_16x16x32_i8 v[196:199], a[76:77], v[188:189], v[196:199]// 000000005EC4: D3D700C4 0F13794C
	ds_write_b64 v3, v[238:239] offset:51328                   // 000000005ECC: D89AC880 0000EE03
	v_mfma_i32_16x16x32_i8 v[196:199], a[78:79], v[190:191], v[196:199]// 000000005ED4: D3D700C4 0F137D4E
	v_mfma_i32_16x16x32_i8 v[200:203], a[80:81], v[144:145], v[200:203]// 000000005EDC: D3D700C8 0F232150
	v_mfma_i32_16x16x32_i8 v[200:203], a[82:83], v[146:147], v[200:203]// 000000005EE4: D3D700C8 0F232552
	buffer_load_dwordx4 a[208:211], v43, s[12:15], 0 offen     // 000000005EEC: E05C1000 8083D02B
	v_mfma_i32_16x16x32_i8 v[200:203], a[84:85], v[148:149], v[200:203]// 000000005EF4: D3D700C8 0F232954
	v_mfma_i32_16x16x32_i8 v[200:203], a[86:87], v[150:151], v[200:203]// 000000005EFC: D3D700C8 0F232D56
	v_mfma_i32_16x16x32_i8 v[200:203], a[88:89], v[152:153], v[200:203]// 000000005F04: D3D700C8 0F233158
	v_mfma_i32_16x16x32_i8 v[200:203], a[90:91], v[154:155], v[200:203]// 000000005F0C: D3D700C8 0F23355A
	buffer_load_dwordx4 a[212:215], v43, s[12:15], 0 offen offset:1024// 000000005F14: E05C1400 8083D42B
	v_mfma_i32_16x16x32_i8 v[200:203], a[92:93], v[156:157], v[200:203]// 000000005F1C: D3D700C8 0F23395C
	v_mfma_i32_16x16x32_i8 v[200:203], a[94:95], v[158:159], v[200:203]// 000000005F24: D3D700C8 0F233D5E
	v_mfma_i32_16x16x32_i8 v[204:207], a[80:81], v[176:177], v[204:207]// 000000005F2C: D3D700CC 0F336150
	v_mfma_i32_16x16x32_i8 v[204:207], a[82:83], v[178:179], v[204:207]// 000000005F34: D3D700CC 0F336552
	buffer_load_dwordx4 a[216:219], v43, s[12:15], 0 offen offset:2048// 000000005F3C: E05C1800 8083D82B
	v_mfma_i32_16x16x32_i8 v[204:207], a[84:85], v[180:181], v[204:207]// 000000005F44: D3D700CC 0F336954
	v_mfma_i32_16x16x32_i8 v[204:207], a[86:87], v[182:183], v[204:207]// 000000005F4C: D3D700CC 0F336D56
	v_mfma_i32_16x16x32_i8 v[204:207], a[88:89], v[184:185], v[204:207]// 000000005F54: D3D700CC 0F337158
	v_mfma_i32_16x16x32_i8 v[204:207], a[90:91], v[186:187], v[204:207]// 000000005F5C: D3D700CC 0F33755A
	buffer_load_dwordx4 a[220:223], v43, s[12:15], 0 offen offset:3072// 000000005F64: E05C1C00 8083DC2B
	v_mfma_i32_16x16x32_i8 v[204:207], a[92:93], v[188:189], v[204:207]// 000000005F6C: D3D700CC 0F33795C
	v_mfma_i32_16x16x32_i8 v[204:207], a[94:95], v[190:191], v[204:207]// 000000005F74: D3D700CC 0F337D5E
	s_waitcnt vmcnt(24)                                        // 000000005F7C: BF8C4F78
	v_mfma_i32_16x16x32_i8 v[208:211], a[96:97], v[144:145], v[208:211]// 000000005F80: D3D700D0 0F432160
	v_mfma_i32_16x16x32_i8 v[208:211], a[98:99], v[146:147], v[208:211]// 000000005F88: D3D700D0 0F432562
	buffer_load_dwordx4 a[224:227], v44, s[12:15], 0 offen     // 000000005F90: E05C1000 8083E02C
	v_mfma_i32_16x16x32_i8 v[208:211], a[100:101], v[148:149], v[208:211]// 000000005F98: D3D700D0 0F432964
	v_mfma_i32_16x16x32_i8 v[208:211], a[102:103], v[150:151], v[208:211]// 000000005FA0: D3D700D0 0F432D66
	buffer_load_dword v13, v5, s[16:19], 0 offen               // 000000005FA8: E0501000 80040D05
	v_mfma_i32_16x16x32_i8 v[208:211], a[104:105], v[152:153], v[208:211]// 000000005FB0: D3D700D0 0F433168
	v_mfma_i32_16x16x32_i8 v[208:211], a[106:107], v[154:155], v[208:211]// 000000005FB8: D3D700D0 0F43356A
	buffer_load_dwordx4 a[228:231], v44, s[12:15], 0 offen offset:1024// 000000005FC0: E05C1400 8083E42C
	v_mfma_i32_16x16x32_i8 v[208:211], a[108:109], v[156:157], v[208:211]// 000000005FC8: D3D700D0 0F43396C
	v_mfma_i32_16x16x32_i8 v[208:211], a[110:111], v[158:159], v[208:211]// 000000005FD0: D3D700D0 0F433D6E
	v_mfma_i32_16x16x32_i8 v[212:215], a[96:97], v[176:177], v[212:215]// 000000005FD8: D3D700D4 0F536160
	v_mfma_i32_16x16x32_i8 v[212:215], a[98:99], v[178:179], v[212:215]// 000000005FE0: D3D700D4 0F536562
	buffer_load_dwordx4 a[232:235], v44, s[12:15], 0 offen offset:2048// 000000005FE8: E05C1800 8083E82C
	v_mfma_i32_16x16x32_i8 v[212:215], a[100:101], v[180:181], v[212:215]// 000000005FF0: D3D700D4 0F536964
	s_add_u32 s60, 0x200, s80                                  // 000000005FF8: 803C50FF 00000200
	s_cmp_lt_u32 s60, s81                                      // 000000006000: BF0A513C
	v_mfma_i32_16x16x32_i8 v[212:215], a[102:103], v[182:183], v[212:215]// 000000006004: D3D700D4 0F536D66
	s_cselect_b32 s56, s56, 0                                  // 00000000600C: 85388038
	s_cselect_b32 s78, s78, 0                                  // 000000006010: 854E804E
	s_cselect_b32 s79, s79, 0                                  // 000000006014: 854F804F
	v_mfma_i32_16x16x32_i8 v[212:215], a[104:105], v[184:185], v[212:215]// 000000006018: D3D700D4 0F537168
	v_mfma_i32_16x16x32_i8 v[212:215], a[106:107], v[186:187], v[212:215]// 000000006020: D3D700D4 0F53756A
	buffer_load_dwordx4 a[236:239], v44, s[12:15], 0 offen offset:3072// 000000006028: E05C1C00 8083EC2C
	v_mfma_i32_16x16x32_i8 v[212:215], a[108:109], v[188:189], v[212:215]// 000000006030: D3D700D4 0F53796C
	s_add_u32 s16, s79, s16                                    // 000000006038: 8010104F
	s_addc_u32 s17, 0, s17                                     // 00000000603C: 82111180
	v_mfma_i32_16x16x32_i8 v[212:215], a[110:111], v[190:191], v[212:215]// 000000006040: D3D700D4 0F537D6E
	v_mfma_i32_16x16x32_i8 v[216:219], a[112:113], v[144:145], v[216:219]// 000000006048: D3D700D8 0F632170
	v_mfma_i32_16x16x32_i8 v[216:219], a[114:115], v[146:147], v[216:219]// 000000006050: D3D700D8 0F632572
	buffer_load_dwordx4 a[240:243], v45, s[12:15], 0 offen     // 000000006058: E05C1000 8083F02D
	v_mfma_i32_16x16x32_i8 v[216:219], a[116:117], v[148:149], v[216:219]// 000000006060: D3D700D8 0F632974
	v_mfma_i32_16x16x32_i8 v[216:219], a[118:119], v[150:151], v[216:219]// 000000006068: D3D700D8 0F632D76
	v_mfma_i32_16x16x32_i8 v[216:219], a[120:121], v[152:153], v[216:219]// 000000006070: D3D700D8 0F633178
	v_mfma_i32_16x16x32_i8 v[216:219], a[122:123], v[154:155], v[216:219]// 000000006078: D3D700D8 0F63357A
	buffer_load_dwordx4 a[244:247], v45, s[12:15], 0 offen offset:1024// 000000006080: E05C1400 8083F42D
	v_mfma_i32_16x16x32_i8 v[216:219], a[124:125], v[156:157], v[216:219]// 000000006088: D3D700D8 0F63397C
	v_mfma_i32_16x16x32_i8 v[216:219], a[126:127], v[158:159], v[216:219]// 000000006090: D3D700D8 0F633D7E
	v_mfma_i32_16x16x32_i8 v[220:223], a[112:113], v[176:177], v[220:223]// 000000006098: D3D700DC 0F736170
	v_mfma_i32_16x16x32_i8 v[220:223], a[114:115], v[178:179], v[220:223]// 0000000060A0: D3D700DC 0F736572
	buffer_load_dwordx4 a[248:251], v45, s[12:15], 0 offen offset:2048// 0000000060A8: E05C1800 8083F82D
	v_mfma_i32_16x16x32_i8 v[220:223], a[116:117], v[180:181], v[220:223]// 0000000060B0: D3D700DC 0F736974
	v_mfma_i32_16x16x32_i8 v[220:223], a[118:119], v[182:183], v[220:223]// 0000000060B8: D3D700DC 0F736D76
	v_mfma_i32_16x16x32_i8 v[220:223], a[120:121], v[184:185], v[220:223]// 0000000060C0: D3D700DC 0F737178
	v_mfma_i32_16x16x32_i8 v[220:223], a[122:123], v[186:187], v[220:223]// 0000000060C8: D3D700DC 0F73757A
	buffer_load_dwordx4 a[252:255], v45, s[12:15], 0 offen offset:3072// 0000000060D0: E05C1C00 8083FC2D
	v_mfma_i32_16x16x32_i8 v[220:223], a[124:125], v[188:189], v[220:223]// 0000000060D8: D3D700DC 0F73797C
	s_add_u32 s12, s56, s12                                    // 0000000060E0: 800C0C38
	s_addc_u32 s13, 0, s13                                     // 0000000060E4: 820D0D80
	v_mfma_i32_16x16x32_i8 v[220:223], a[126:127], v[190:191], v[220:223]// 0000000060E8: D3D700DC 0F737D7E
	v_mov_b32_e32 v96, v24                                     // 0000000060F0: 7EC00318
	v_mov_b32_e32 v100, v20                                    // 0000000060F4: 7EC80314
	v_mov_b32_e32 v97, v24                                     // 0000000060F8: 7EC20318
	v_mov_b32_e32 v101, v20                                    // 0000000060FC: 7ECA0314
	v_mov_b32_e32 v98, v25                                     // 000000006100: 7EC40319
	v_mov_b32_e32 v102, v21                                    // 000000006104: 7ECC0315
	v_mov_b32_e32 v99, v25                                     // 000000006108: 7EC60319
	v_mov_b32_e32 v103, v21                                    // 00000000610C: 7ECE0315
	v_cvt_f32_i32_e32 v192, v192                               // 000000006110: 7F800BC0
	v_cvt_f32_i32_e32 v193, v193                               // 000000006114: 7F820BC1
	v_cvt_f32_i32_e32 v194, v194                               // 000000006118: 7F840BC2
	v_cvt_f32_i32_e32 v195, v195                               // 00000000611C: 7F860BC3
	v_pk_mul_f32 v[192:193], v[96:97], v[192:193]              // 000000006120: D3B140C0 18038160
	v_pk_mul_f32 v[194:195], v[96:97], v[194:195]              // 000000006128: D3B140C2 18038560
	v_mul_f32_dpp v192, v12, v192 row_newbcast:0 row_mask:0xf bank_mask:0xf// 000000006130: 0B8180FA FF01500C
	v_mul_f32_dpp v193, v12, v193 row_newbcast:1 row_mask:0xf bank_mask:0xf// 000000006138: 0B8382FA FF01510C
	v_mul_f32_dpp v194, v12, v194 row_newbcast:2 row_mask:0xf bank_mask:0xf// 000000006140: 0B8584FA FF01520C
	v_mul_f32_dpp v195, v12, v195 row_newbcast:3 row_mask:0xf bank_mask:0xf// 000000006148: 0B8786FA FF01530C
	v_pk_mul_f32 v[192:193], v[100:101], v[192:193]            // 000000006150: D3B140C0 18038164
	v_pk_mul_f32 v[194:195], v[100:101], v[194:195]            // 000000006158: D3B140C2 18038564
	v_cvt_f32_i32_e32 v196, v196                               // 000000006160: 7F880BC4
	v_cvt_f32_i32_e32 v197, v197                               // 000000006164: 7F8A0BC5
	v_cvt_f32_i32_e32 v198, v198                               // 000000006168: 7F8C0BC6
	v_cvt_f32_i32_e32 v199, v199                               // 00000000616C: 7F8E0BC7
	v_pk_mul_f32 v[196:197], v[98:99], v[196:197]              // 000000006170: D3B140C4 18038962
	v_pk_mul_f32 v[198:199], v[98:99], v[198:199]              // 000000006178: D3B140C6 18038D62
	v_mul_f32_dpp v196, v12, v196 row_newbcast:0 row_mask:0xf bank_mask:0xf// 000000006180: 0B8988FA FF01500C
	v_mul_f32_dpp v197, v12, v197 row_newbcast:1 row_mask:0xf bank_mask:0xf// 000000006188: 0B8B8AFA FF01510C
	v_mul_f32_dpp v198, v12, v198 row_newbcast:2 row_mask:0xf bank_mask:0xf// 000000006190: 0B8D8CFA FF01520C
	v_mul_f32_dpp v199, v12, v199 row_newbcast:3 row_mask:0xf bank_mask:0xf// 000000006198: 0B8F8EFA FF01530C
	v_pk_mul_f32 v[196:197], v[102:103], v[196:197]            // 0000000061A0: D3B140C4 18038966
	v_pk_mul_f32 v[198:199], v[102:103], v[198:199]            // 0000000061A8: D3B140C6 18038D66
	v_cvt_f32_i32_e32 v200, v200                               // 0000000061B0: 7F900BC8
	v_cvt_f32_i32_e32 v201, v201                               // 0000000061B4: 7F920BC9
	v_cvt_f32_i32_e32 v202, v202                               // 0000000061B8: 7F940BCA
	v_cvt_f32_i32_e32 v203, v203                               // 0000000061BC: 7F960BCB
	v_pk_mul_f32 v[200:201], v[96:97], v[200:201]              // 0000000061C0: D3B140C8 18039160
	v_pk_mul_f32 v[202:203], v[96:97], v[202:203]              // 0000000061C8: D3B140CA 18039560
	v_mul_f32_dpp v200, v12, v200 row_newbcast:4 row_mask:0xf bank_mask:0xf// 0000000061D0: 0B9190FA FF01540C
	v_mul_f32_dpp v201, v12, v201 row_newbcast:5 row_mask:0xf bank_mask:0xf// 0000000061D8: 0B9392FA FF01550C
	v_mul_f32_dpp v202, v12, v202 row_newbcast:6 row_mask:0xf bank_mask:0xf// 0000000061E0: 0B9594FA FF01560C
	v_mul_f32_dpp v203, v12, v203 row_newbcast:7 row_mask:0xf bank_mask:0xf// 0000000061E8: 0B9796FA FF01570C
	v_pk_mul_f32 v[200:201], v[100:101], v[200:201]            // 0000000061F0: D3B140C8 18039164
	v_pk_mul_f32 v[202:203], v[100:101], v[202:203]            // 0000000061F8: D3B140CA 18039564
	v_cvt_f32_i32_e32 v204, v204                               // 000000006200: 7F980BCC
	v_cvt_f32_i32_e32 v205, v205                               // 000000006204: 7F9A0BCD
	v_cvt_f32_i32_e32 v206, v206                               // 000000006208: 7F9C0BCE
	v_cvt_f32_i32_e32 v207, v207                               // 00000000620C: 7F9E0BCF
	v_pk_mul_f32 v[204:205], v[98:99], v[204:205]              // 000000006210: D3B140CC 18039962
	v_pk_mul_f32 v[206:207], v[98:99], v[206:207]              // 000000006218: D3B140CE 18039D62
	v_mul_f32_dpp v204, v12, v204 row_newbcast:4 row_mask:0xf bank_mask:0xf// 000000006220: 0B9998FA FF01540C
	v_mul_f32_dpp v205, v12, v205 row_newbcast:5 row_mask:0xf bank_mask:0xf// 000000006228: 0B9B9AFA FF01550C
	v_mul_f32_dpp v206, v12, v206 row_newbcast:6 row_mask:0xf bank_mask:0xf// 000000006230: 0B9D9CFA FF01560C
	v_mul_f32_dpp v207, v12, v207 row_newbcast:7 row_mask:0xf bank_mask:0xf// 000000006238: 0B9F9EFA FF01570C
	v_pk_mul_f32 v[204:205], v[102:103], v[204:205]            // 000000006240: D3B140CC 18039966
	v_pk_mul_f32 v[206:207], v[102:103], v[206:207]            // 000000006248: D3B140CE 18039D66
	v_cvt_f32_i32_e32 v208, v208                               // 000000006250: 7FA00BD0
	v_cvt_f32_i32_e32 v209, v209                               // 000000006254: 7FA20BD1
	v_cvt_f32_i32_e32 v210, v210                               // 000000006258: 7FA40BD2
	v_cvt_f32_i32_e32 v211, v211                               // 00000000625C: 7FA60BD3
	v_pk_mul_f32 v[208:209], v[96:97], v[208:209]              // 000000006260: D3B140D0 1803A160
	v_pk_mul_f32 v[210:211], v[96:97], v[210:211]              // 000000006268: D3B140D2 1803A560
	v_mul_f32_dpp v208, v12, v208 row_newbcast:8 row_mask:0xf bank_mask:0xf// 000000006270: 0BA1A0FA FF01580C
	v_mul_f32_dpp v209, v12, v209 row_newbcast:9 row_mask:0xf bank_mask:0xf// 000000006278: 0BA3A2FA FF01590C
	v_mul_f32_dpp v210, v12, v210 row_newbcast:10 row_mask:0xf bank_mask:0xf// 000000006280: 0BA5A4FA FF015A0C
	v_mul_f32_dpp v211, v12, v211 row_newbcast:11 row_mask:0xf bank_mask:0xf// 000000006288: 0BA7A6FA FF015B0C
	v_pk_mul_f32 v[208:209], v[100:101], v[208:209]            // 000000006290: D3B140D0 1803A164
	v_pk_mul_f32 v[210:211], v[100:101], v[210:211]            // 000000006298: D3B140D2 1803A564
	v_cvt_f32_i32_e32 v212, v212                               // 0000000062A0: 7FA80BD4
	v_cvt_f32_i32_e32 v213, v213                               // 0000000062A4: 7FAA0BD5
	v_cvt_f32_i32_e32 v214, v214                               // 0000000062A8: 7FAC0BD6
	v_cvt_f32_i32_e32 v215, v215                               // 0000000062AC: 7FAE0BD7
	v_pk_mul_f32 v[212:213], v[98:99], v[212:213]              // 0000000062B0: D3B140D4 1803A962
	v_pk_mul_f32 v[214:215], v[98:99], v[214:215]              // 0000000062B8: D3B140D6 1803AD62
	v_mul_f32_dpp v212, v12, v212 row_newbcast:8 row_mask:0xf bank_mask:0xf// 0000000062C0: 0BA9A8FA FF01580C
	v_mul_f32_dpp v213, v12, v213 row_newbcast:9 row_mask:0xf bank_mask:0xf// 0000000062C8: 0BABAAFA FF01590C
	v_mul_f32_dpp v214, v12, v214 row_newbcast:10 row_mask:0xf bank_mask:0xf// 0000000062D0: 0BADACFA FF015A0C
	v_mul_f32_dpp v215, v12, v215 row_newbcast:11 row_mask:0xf bank_mask:0xf// 0000000062D8: 0BAFAEFA FF015B0C
	v_pk_mul_f32 v[212:213], v[102:103], v[212:213]            // 0000000062E0: D3B140D4 1803A966
	v_pk_mul_f32 v[214:215], v[102:103], v[214:215]            // 0000000062E8: D3B140D6 1803AD66
	v_cvt_f32_i32_e32 v216, v216                               // 0000000062F0: 7FB00BD8
	v_cvt_f32_i32_e32 v217, v217                               // 0000000062F4: 7FB20BD9
	v_cvt_f32_i32_e32 v218, v218                               // 0000000062F8: 7FB40BDA
	v_cvt_f32_i32_e32 v219, v219                               // 0000000062FC: 7FB60BDB
	v_pk_mul_f32 v[216:217], v[96:97], v[216:217]              // 000000006300: D3B140D8 1803B160
	v_pk_mul_f32 v[218:219], v[96:97], v[218:219]              // 000000006308: D3B140DA 1803B560
	v_mul_f32_dpp v216, v12, v216 row_newbcast:12 row_mask:0xf bank_mask:0xf// 000000006310: 0BB1B0FA FF015C0C
	v_mul_f32_dpp v217, v12, v217 row_newbcast:13 row_mask:0xf bank_mask:0xf// 000000006318: 0BB3B2FA FF015D0C
	v_mul_f32_dpp v218, v12, v218 row_newbcast:14 row_mask:0xf bank_mask:0xf// 000000006320: 0BB5B4FA FF015E0C
	v_mul_f32_dpp v219, v12, v219 row_newbcast:15 row_mask:0xf bank_mask:0xf// 000000006328: 0BB7B6FA FF015F0C
	v_pk_mul_f32 v[216:217], v[100:101], v[216:217]            // 000000006330: D3B140D8 1803B164
	v_pk_mul_f32 v[218:219], v[100:101], v[218:219]            // 000000006338: D3B140DA 1803B564
	v_cvt_f32_i32_e32 v220, v220                               // 000000006340: 7FB80BDC
	v_cvt_f32_i32_e32 v221, v221                               // 000000006344: 7FBA0BDD
	v_cvt_f32_i32_e32 v222, v222                               // 000000006348: 7FBC0BDE
	v_cvt_f32_i32_e32 v223, v223                               // 00000000634C: 7FBE0BDF
	v_pk_mul_f32 v[220:221], v[98:99], v[220:221]              // 000000006350: D3B140DC 1803B962
	v_pk_mul_f32 v[222:223], v[98:99], v[222:223]              // 000000006358: D3B140DE 1803BD62
	v_mul_f32_dpp v220, v12, v220 row_newbcast:12 row_mask:0xf bank_mask:0xf// 000000006360: 0BB9B8FA FF015C0C
	v_mul_f32_dpp v221, v12, v221 row_newbcast:13 row_mask:0xf bank_mask:0xf// 000000006368: 0BBBBAFA FF015D0C
	v_mul_f32_dpp v222, v12, v222 row_newbcast:14 row_mask:0xf bank_mask:0xf// 000000006370: 0BBDBCFA FF015E0C
	v_mul_f32_dpp v223, v12, v223 row_newbcast:15 row_mask:0xf bank_mask:0xf// 000000006378: 0BBFBEFA FF015F0C
	v_pk_mul_f32 v[220:221], v[102:103], v[220:221]            // 000000006380: D3B140DC 1803B966
	v_pk_mul_f32 v[222:223], v[102:103], v[222:223]            // 000000006388: D3B140DE 1803BD66
	v_cmp_u_f32_e64 s[48:49], v192, v192                       // 000000006390: D0480030 000381C0
	v_add3_u32 v50, v192, v53, 1                               // 000000006398: D1FF0032 02066BC0
	v_cndmask_b32_e64 v54, v50, v52, s[48:49]                  // 0000000063A0: D1000036 00C26932
	v_cmp_u_f32_e64 s[48:49], v193, v193                       // 0000000063A8: D0480030 000383C1
	v_add3_u32 v50, v193, v53, 1                               // 0000000063B0: D1FF0032 02066BC1
	v_cndmask_b32_e64 v55, v50, v52, s[48:49]                  // 0000000063B8: D1000037 00C26932
	v_perm_b32 v192, v55, v54, s52                             // 0000000063C0: D1ED00C0 00D26D37
	v_cmp_u_f32_e64 s[48:49], v194, v194                       // 0000000063C8: D0480030 000385C2
	v_add3_u32 v50, v194, v53, 1                               // 0000000063D0: D1FF0032 02066BC2
	v_cndmask_b32_e64 v54, v50, v52, s[48:49]                  // 0000000063D8: D1000036 00C26932
	v_cmp_u_f32_e64 s[48:49], v195, v195                       // 0000000063E0: D0480030 000387C3
	v_add3_u32 v50, v195, v53, 1                               // 0000000063E8: D1FF0032 02066BC3
	v_cndmask_b32_e64 v55, v50, v52, s[48:49]                  // 0000000063F0: D1000037 00C26932
	v_perm_b32 v193, v55, v54, s52                             // 0000000063F8: D1ED00C1 00D26D37
	v_cmp_u_f32_e64 s[48:49], v196, v196                       // 000000006400: D0480030 000389C4
	v_add3_u32 v50, v196, v53, 1                               // 000000006408: D1FF0032 02066BC4
	v_cndmask_b32_e64 v54, v50, v52, s[48:49]                  // 000000006410: D1000036 00C26932
	v_cmp_u_f32_e64 s[48:49], v197, v197                       // 000000006418: D0480030 00038BC5
	v_add3_u32 v50, v197, v53, 1                               // 000000006420: D1FF0032 02066BC5
	v_cndmask_b32_e64 v55, v50, v52, s[48:49]                  // 000000006428: D1000037 00C26932
	v_perm_b32 v194, v55, v54, s52                             // 000000006430: D1ED00C2 00D26D37
	v_cmp_u_f32_e64 s[48:49], v198, v198                       // 000000006438: D0480030 00038DC6
	v_add3_u32 v50, v198, v53, 1                               // 000000006440: D1FF0032 02066BC6
	v_cndmask_b32_e64 v54, v50, v52, s[48:49]                  // 000000006448: D1000036 00C26932
	v_cmp_u_f32_e64 s[48:49], v199, v199                       // 000000006450: D0480030 00038FC7
	v_add3_u32 v50, v199, v53, 1                               // 000000006458: D1FF0032 02066BC7
	v_cndmask_b32_e64 v55, v50, v52, s[48:49]                  // 000000006460: D1000037 00C26932
	v_perm_b32 v195, v55, v54, s52                             // 000000006468: D1ED00C3 00D26D37
	v_cmp_u_f32_e64 s[48:49], v200, v200                       // 000000006470: D0480030 000391C8
	v_add3_u32 v50, v200, v53, 1                               // 000000006478: D1FF0032 02066BC8
	v_cndmask_b32_e64 v54, v50, v52, s[48:49]                  // 000000006480: D1000036 00C26932
	v_cmp_u_f32_e64 s[48:49], v201, v201                       // 000000006488: D0480030 000393C9
	v_add3_u32 v50, v201, v53, 1                               // 000000006490: D1FF0032 02066BC9
	v_cndmask_b32_e64 v55, v50, v52, s[48:49]                  // 000000006498: D1000037 00C26932
	v_perm_b32 v196, v55, v54, s52                             // 0000000064A0: D1ED00C4 00D26D37
	v_cmp_u_f32_e64 s[48:49], v202, v202                       // 0000000064A8: D0480030 000395CA
	v_add3_u32 v50, v202, v53, 1                               // 0000000064B0: D1FF0032 02066BCA
	v_cndmask_b32_e64 v54, v50, v52, s[48:49]                  // 0000000064B8: D1000036 00C26932
	v_cmp_u_f32_e64 s[48:49], v203, v203                       // 0000000064C0: D0480030 000397CB
	v_add3_u32 v50, v203, v53, 1                               // 0000000064C8: D1FF0032 02066BCB
	v_cndmask_b32_e64 v55, v50, v52, s[48:49]                  // 0000000064D0: D1000037 00C26932
	v_perm_b32 v197, v55, v54, s52                             // 0000000064D8: D1ED00C5 00D26D37
	v_cmp_u_f32_e64 s[48:49], v204, v204                       // 0000000064E0: D0480030 000399CC
	v_add3_u32 v50, v204, v53, 1                               // 0000000064E8: D1FF0032 02066BCC
	v_cndmask_b32_e64 v54, v50, v52, s[48:49]                  // 0000000064F0: D1000036 00C26932
	v_cmp_u_f32_e64 s[48:49], v205, v205                       // 0000000064F8: D0480030 00039BCD
	v_add3_u32 v50, v205, v53, 1                               // 000000006500: D1FF0032 02066BCD
	v_cndmask_b32_e64 v55, v50, v52, s[48:49]                  // 000000006508: D1000037 00C26932
	v_perm_b32 v198, v55, v54, s52                             // 000000006510: D1ED00C6 00D26D37
	v_cmp_u_f32_e64 s[48:49], v206, v206                       // 000000006518: D0480030 00039DCE
	v_add3_u32 v50, v206, v53, 1                               // 000000006520: D1FF0032 02066BCE
	v_cndmask_b32_e64 v54, v50, v52, s[48:49]                  // 000000006528: D1000036 00C26932
	v_cmp_u_f32_e64 s[48:49], v207, v207                       // 000000006530: D0480030 00039FCF
	v_add3_u32 v50, v207, v53, 1                               // 000000006538: D1FF0032 02066BCF
	v_cndmask_b32_e64 v55, v50, v52, s[48:49]                  // 000000006540: D1000037 00C26932
	v_perm_b32 v199, v55, v54, s52                             // 000000006548: D1ED00C7 00D26D37
	v_cmp_u_f32_e64 s[48:49], v208, v208                       // 000000006550: D0480030 0003A1D0
	v_add3_u32 v50, v208, v53, 1                               // 000000006558: D1FF0032 02066BD0
	v_cndmask_b32_e64 v54, v50, v52, s[48:49]                  // 000000006560: D1000036 00C26932
	v_cmp_u_f32_e64 s[48:49], v209, v209                       // 000000006568: D0480030 0003A3D1
	v_add3_u32 v50, v209, v53, 1                               // 000000006570: D1FF0032 02066BD1
	v_cndmask_b32_e64 v55, v50, v52, s[48:49]                  // 000000006578: D1000037 00C26932
	v_perm_b32 v200, v55, v54, s52                             // 000000006580: D1ED00C8 00D26D37
	v_cmp_u_f32_e64 s[48:49], v210, v210                       // 000000006588: D0480030 0003A5D2
	v_add3_u32 v50, v210, v53, 1                               // 000000006590: D1FF0032 02066BD2
	v_cndmask_b32_e64 v54, v50, v52, s[48:49]                  // 000000006598: D1000036 00C26932
	v_cmp_u_f32_e64 s[48:49], v211, v211                       // 0000000065A0: D0480030 0003A7D3
	v_add3_u32 v50, v211, v53, 1                               // 0000000065A8: D1FF0032 02066BD3
	v_cndmask_b32_e64 v55, v50, v52, s[48:49]                  // 0000000065B0: D1000037 00C26932
	v_perm_b32 v201, v55, v54, s52                             // 0000000065B8: D1ED00C9 00D26D37
	v_cmp_u_f32_e64 s[48:49], v212, v212                       // 0000000065C0: D0480030 0003A9D4
	v_add3_u32 v50, v212, v53, 1                               // 0000000065C8: D1FF0032 02066BD4
	v_cndmask_b32_e64 v54, v50, v52, s[48:49]                  // 0000000065D0: D1000036 00C26932
	v_cmp_u_f32_e64 s[48:49], v213, v213                       // 0000000065D8: D0480030 0003ABD5
	v_add3_u32 v50, v213, v53, 1                               // 0000000065E0: D1FF0032 02066BD5
	v_cndmask_b32_e64 v55, v50, v52, s[48:49]                  // 0000000065E8: D1000037 00C26932
	v_perm_b32 v202, v55, v54, s52                             // 0000000065F0: D1ED00CA 00D26D37
	v_cmp_u_f32_e64 s[48:49], v214, v214                       // 0000000065F8: D0480030 0003ADD6
	v_add3_u32 v50, v214, v53, 1                               // 000000006600: D1FF0032 02066BD6
	v_cndmask_b32_e64 v54, v50, v52, s[48:49]                  // 000000006608: D1000036 00C26932
	v_cmp_u_f32_e64 s[48:49], v215, v215                       // 000000006610: D0480030 0003AFD7
	v_add3_u32 v50, v215, v53, 1                               // 000000006618: D1FF0032 02066BD7
	v_cndmask_b32_e64 v55, v50, v52, s[48:49]                  // 000000006620: D1000037 00C26932
	v_perm_b32 v203, v55, v54, s52                             // 000000006628: D1ED00CB 00D26D37
	v_cmp_u_f32_e64 s[48:49], v216, v216                       // 000000006630: D0480030 0003B1D8
	v_add3_u32 v50, v216, v53, 1                               // 000000006638: D1FF0032 02066BD8
	v_cndmask_b32_e64 v54, v50, v52, s[48:49]                  // 000000006640: D1000036 00C26932
	v_cmp_u_f32_e64 s[48:49], v217, v217                       // 000000006648: D0480030 0003B3D9
	v_add3_u32 v50, v217, v53, 1                               // 000000006650: D1FF0032 02066BD9
	v_cndmask_b32_e64 v55, v50, v52, s[48:49]                  // 000000006658: D1000037 00C26932
	v_perm_b32 v204, v55, v54, s52                             // 000000006660: D1ED00CC 00D26D37
	v_cmp_u_f32_e64 s[48:49], v218, v218                       // 000000006668: D0480030 0003B5DA
	v_add3_u32 v50, v218, v53, 1                               // 000000006670: D1FF0032 02066BDA
	v_cndmask_b32_e64 v54, v50, v52, s[48:49]                  // 000000006678: D1000036 00C26932
	v_cmp_u_f32_e64 s[48:49], v219, v219                       // 000000006680: D0480030 0003B7DB
	v_add3_u32 v50, v219, v53, 1                               // 000000006688: D1FF0032 02066BDB
	v_cndmask_b32_e64 v55, v50, v52, s[48:49]                  // 000000006690: D1000037 00C26932
	v_perm_b32 v205, v55, v54, s52                             // 000000006698: D1ED00CD 00D26D37
	v_cmp_u_f32_e64 s[48:49], v220, v220                       // 0000000066A0: D0480030 0003B9DC
	v_add3_u32 v50, v220, v53, 1                               // 0000000066A8: D1FF0032 02066BDC
	v_cndmask_b32_e64 v54, v50, v52, s[48:49]                  // 0000000066B0: D1000036 00C26932
	v_cmp_u_f32_e64 s[48:49], v221, v221                       // 0000000066B8: D0480030 0003BBDD
	v_add3_u32 v50, v221, v53, 1                               // 0000000066C0: D1FF0032 02066BDD
	v_cndmask_b32_e64 v55, v50, v52, s[48:49]                  // 0000000066C8: D1000037 00C26932
	v_perm_b32 v206, v55, v54, s52                             // 0000000066D0: D1ED00CE 00D26D37
	v_cmp_u_f32_e64 s[48:49], v222, v222                       // 0000000066D8: D0480030 0003BDDE
	v_add3_u32 v50, v222, v53, 1                               // 0000000066E0: D1FF0032 02066BDE
	v_cndmask_b32_e64 v54, v50, v52, s[48:49]                  // 0000000066E8: D1000036 00C26932
	v_cmp_u_f32_e64 s[48:49], v223, v223                       // 0000000066F0: D0480030 0003BFDF
	v_add3_u32 v50, v223, v53, 1                               // 0000000066F8: D1FF0032 02066BDF
	v_cndmask_b32_e64 v55, v50, v52, s[48:49]                  // 000000006700: D1000037 00C26932
	v_perm_b32 v207, v55, v54, s52                             // 000000006708: D1ED00CF 00D26D37
	s_setvskip s20, 0                                          // 000000006710: BF108014
	global_atomic_pk_add_bf16 v80, v64, s[8:9]                 // 000000006714: DD488000 00084050
	s_setvskip 0, 0                                            // 00000000671C: BF108080
	s_setvskip s20, 0                                          // 000000006720: BF108014
	global_atomic_pk_add_bf16 v80, v65, s[8:9] offset:256      // 000000006724: DD488100 00084150
	s_setvskip 0, 0                                            // 00000000672C: BF108080
	s_setvskip s20, 1                                          // 000000006730: BF108114
	global_atomic_pk_add_bf16 v82, v66, s[8:9]                 // 000000006734: DD488000 00084252
	s_setvskip 0, 0                                            // 00000000673C: BF108080
	s_setvskip s20, 1                                          // 000000006740: BF108114
	global_atomic_pk_add_bf16 v82, v67, s[8:9] offset:256      // 000000006744: DD488100 00084352
	s_setvskip 0, 0                                            // 00000000674C: BF108080
	s_setvskip s20, 2                                          // 000000006750: BF108214
	global_atomic_pk_add_bf16 v84, v68, s[8:9]                 // 000000006754: DD488000 00084454
	s_setvskip 0, 0                                            // 00000000675C: BF108080
	s_setvskip s20, 2                                          // 000000006760: BF108214
	global_atomic_pk_add_bf16 v84, v69, s[8:9] offset:256      // 000000006764: DD488100 00084554
	s_setvskip 0, 0                                            // 00000000676C: BF108080
	s_setvskip s20, 3                                          // 000000006770: BF108314
	global_atomic_pk_add_bf16 v86, v70, s[8:9]                 // 000000006774: DD488000 00084656
	s_setvskip 0, 0                                            // 00000000677C: BF108080
	s_setvskip s20, 3                                          // 000000006780: BF108314
	global_atomic_pk_add_bf16 v86, v71, s[8:9] offset:256      // 000000006784: DD488100 00084756
	s_setvskip 0, 0                                            // 00000000678C: BF108080
	s_setvskip s20, 4                                          // 000000006790: BF108414
	global_atomic_pk_add_bf16 v88, v72, s[8:9]                 // 000000006794: DD488000 00084858
	s_setvskip 0, 0                                            // 00000000679C: BF108080
	s_setvskip s20, 4                                          // 0000000067A0: BF108414
	global_atomic_pk_add_bf16 v88, v73, s[8:9] offset:256      // 0000000067A4: DD488100 00084958
	s_setvskip 0, 0                                            // 0000000067AC: BF108080
	s_setvskip s20, 5                                          // 0000000067B0: BF108514
	global_atomic_pk_add_bf16 v90, v74, s[8:9]                 // 0000000067B4: DD488000 00084A5A
	s_setvskip 0, 0                                            // 0000000067BC: BF108080
	s_setvskip s20, 5                                          // 0000000067C0: BF108514
	global_atomic_pk_add_bf16 v90, v75, s[8:9] offset:256      // 0000000067C4: DD488100 00084B5A
	s_setvskip 0, 0                                            // 0000000067CC: BF108080
	s_setvskip s20, 6                                          // 0000000067D0: BF108614
	global_atomic_pk_add_bf16 v92, v76, s[8:9]                 // 0000000067D4: DD488000 00084C5C
	s_setvskip 0, 0                                            // 0000000067DC: BF108080
	s_setvskip s20, 6                                          // 0000000067E0: BF108614
	global_atomic_pk_add_bf16 v92, v77, s[8:9] offset:256      // 0000000067E4: DD488100 00084D5C
	s_setvskip 0, 0                                            // 0000000067EC: BF108080
	s_setvskip s20, 7                                          // 0000000067F0: BF108714
	global_atomic_pk_add_bf16 v94, v78, s[8:9]                 // 0000000067F4: DD488000 00084E5E
	s_setvskip 0, 0                                            // 0000000067FC: BF108080
	s_setvskip s20, 7                                          // 000000006800: BF108714
	global_atomic_pk_add_bf16 v94, v79, s[8:9] offset:256      // 000000006804: DD488100 00084F5E
	s_setvskip 0, 0                                            // 00000000680C: BF108080
	s_cmp_ge_u32 s80, 0x200                                    // 000000006810: BF09FF50 00000200
	s_cselect_b32 s59, 0x200, s59                              // 000000006818: 853B3BFF 00000200
	s_add_u32 s8, s59, s8                                      // 000000006820: 8008083B
	s_addc_u32 s9, 0, s9                                       // 000000006824: 82090980
	s_addk_i32 s80, 0x100                                      // 000000006828: B7500100
	s_cmp_lt_i32 s80, s81                                      // 00000000682C: BF045150
	s_cbranch_scc0 label_12A2                                  // 000000006830: BF840355
	s_waitcnt vmcnt(25) lgkmcnt(0)                             // 000000006834: BF8C4079
	s_barrier                                                  // 000000006838: BF8A0000
	v_mfma_i32_16x16x32_i8 v[224:227], a[128:129], v[128:129], 0// 00000000683C: D3D700E0 0A030180
	ds_read_b32 v64, v4 offset:36096                           // 000000006844: D86C8D00 40000004
	ds_read_b32 v65, v4 offset:40448                           // 00000000684C: D86C9E00 41000004
	v_mfma_i32_16x16x32_i8 v[224:227], a[130:131], v[130:131], v[224:227]// 000000006854: D3D700E0 0F830582
	buffer_load_dwordx4 a[0:3], v42, s[12:15], 0 offen         // 00000000685C: E05C1000 8083002A
	v_mfma_i32_16x16x32_i8 v[224:227], a[132:133], v[132:133], v[224:227]// 000000006864: D3D700E0 0F830984
	ds_read_b32 v66, v4 offset:36128                           // 00000000686C: D86C8D20 42000004
	ds_read_b32 v67, v4 offset:40480                           // 000000006874: D86C9E20 43000004
	v_mfma_i32_16x16x32_i8 v[224:227], a[134:135], v[134:135], v[224:227]// 00000000687C: D3D700E0 0F830D86
	v_mfma_i32_16x16x32_i8 v[224:227], a[136:137], v[136:137], v[224:227]// 000000006884: D3D700E0 0F831188
	ds_read_b32 v68, v4 offset:36160                           // 00000000688C: D86C8D40 44000004
	ds_read_b32 v69, v4 offset:40512                           // 000000006894: D86C9E40 45000004
	v_mfma_i32_16x16x32_i8 v[224:227], a[138:139], v[138:139], v[224:227]// 00000000689C: D3D700E0 0F83158A
	buffer_load_dwordx4 a[4:7], v42, s[12:15], 0 offen offset:1024// 0000000068A4: E05C1400 8083042A
	v_mfma_i32_16x16x32_i8 v[224:227], a[140:141], v[140:141], v[224:227]// 0000000068AC: D3D700E0 0F83198C
	ds_read_b32 v70, v4 offset:36192                           // 0000000068B4: D86C8D60 46000004
	ds_read_b32 v71, v4 offset:40544                           // 0000000068BC: D86C9E60 47000004
	v_mfma_i32_16x16x32_i8 v[224:227], a[142:143], v[142:143], v[224:227]// 0000000068C4: D3D700E0 0F831D8E
	v_mfma_i32_16x16x32_i8 v[228:231], a[128:129], v[160:161], 0// 0000000068CC: D3D700E4 0A034180
	ds_read_b32 v72, v4 offset:44800                           // 0000000068D4: D86CAF00 48000004
	ds_read_b32 v73, v4 offset:49152                           // 0000000068DC: D86CC000 49000004
	v_mfma_i32_16x16x32_i8 v[228:231], a[130:131], v[162:163], v[228:231]// 0000000068E4: D3D700E4 0F934582
	buffer_load_dwordx4 a[8:11], v42, s[12:15], 0 offen offset:2048// 0000000068EC: E05C1800 8083082A
	v_mfma_i32_16x16x32_i8 v[228:231], a[132:133], v[164:165], v[228:231]// 0000000068F4: D3D700E4 0F934984
	ds_read_b32 v74, v4 offset:44832                           // 0000000068FC: D86CAF20 4A000004
	ds_read_b32 v75, v4 offset:49184                           // 000000006904: D86CC020 4B000004
	v_mfma_i32_16x16x32_i8 v[228:231], a[134:135], v[166:167], v[228:231]// 00000000690C: D3D700E4 0F934D86
	v_mfma_i32_16x16x32_i8 v[228:231], a[136:137], v[168:169], v[228:231]// 000000006914: D3D700E4 0F935188
	ds_read_b32 v76, v4 offset:44864                           // 00000000691C: D86CAF40 4C000004
	ds_read_b32 v77, v4 offset:49216                           // 000000006924: D86CC040 4D000004
	v_mfma_i32_16x16x32_i8 v[228:231], a[138:139], v[170:171], v[228:231]// 00000000692C: D3D700E4 0F93558A
	buffer_load_dwordx4 a[12:15], v42, s[12:15], 0 offen offset:3072// 000000006934: E05C1C00 80830C2A
	v_mfma_i32_16x16x32_i8 v[228:231], a[140:141], v[172:173], v[228:231]// 00000000693C: D3D700E4 0F93598C
	ds_read_b32 v78, v4 offset:44896                           // 000000006944: D86CAF60 4E000004
	ds_read_b32 v79, v4 offset:49248                           // 00000000694C: D86CC060 4F000004
	v_mfma_i32_16x16x32_i8 v[228:231], a[142:143], v[174:175], v[228:231]// 000000006954: D3D700E4 0F935D8E
	v_mfma_i32_16x16x32_i8 v[232:235], a[144:145], v[128:129], 0// 00000000695C: D3D700E8 0A030190
	v_mfma_i32_16x16x32_i8 v[232:235], a[146:147], v[130:131], v[232:235]// 000000006964: D3D700E8 0FA30592
	buffer_load_dwordx4 a[16:19], v43, s[12:15], 0 offen       // 00000000696C: E05C1000 8083102B
	v_mfma_i32_16x16x32_i8 v[232:235], a[148:149], v[132:133], v[232:235]// 000000006974: D3D700E8 0FA30994
	v_mfma_i32_16x16x32_i8 v[232:235], a[150:151], v[134:135], v[232:235]// 00000000697C: D3D700E8 0FA30D96
	v_mfma_i32_16x16x32_i8 v[232:235], a[152:153], v[136:137], v[232:235]// 000000006984: D3D700E8 0FA31198
	v_mfma_i32_16x16x32_i8 v[232:235], a[154:155], v[138:139], v[232:235]// 00000000698C: D3D700E8 0FA3159A
	buffer_load_dwordx4 a[20:23], v43, s[12:15], 0 offen offset:1024// 000000006994: E05C1400 8083142B
	v_mfma_i32_16x16x32_i8 v[232:235], a[156:157], v[140:141], v[232:235]// 00000000699C: D3D700E8 0FA3199C
	v_mfma_i32_16x16x32_i8 v[232:235], a[158:159], v[142:143], v[232:235]// 0000000069A4: D3D700E8 0FA31D9E
	v_mfma_i32_16x16x32_i8 v[236:239], a[144:145], v[160:161], 0// 0000000069AC: D3D700EC 0A034190
	v_mfma_i32_16x16x32_i8 v[236:239], a[146:147], v[162:163], v[236:239]// 0000000069B4: D3D700EC 0FB34592
	buffer_load_dwordx4 a[24:27], v43, s[12:15], 0 offen offset:2048// 0000000069BC: E05C1800 8083182B
	v_mfma_i32_16x16x32_i8 v[236:239], a[148:149], v[164:165], v[236:239]// 0000000069C4: D3D700EC 0FB34994
	v_mfma_i32_16x16x32_i8 v[236:239], a[150:151], v[166:167], v[236:239]// 0000000069CC: D3D700EC 0FB34D96
	v_mfma_i32_16x16x32_i8 v[236:239], a[152:153], v[168:169], v[236:239]// 0000000069D4: D3D700EC 0FB35198
	v_mfma_i32_16x16x32_i8 v[236:239], a[154:155], v[170:171], v[236:239]// 0000000069DC: D3D700EC 0FB3559A
	buffer_load_dwordx4 a[28:31], v43, s[12:15], 0 offen offset:3072// 0000000069E4: E05C1C00 80831C2B
	v_mfma_i32_16x16x32_i8 v[236:239], a[156:157], v[172:173], v[236:239]// 0000000069EC: D3D700EC 0FB3599C
	v_mfma_i32_16x16x32_i8 v[236:239], a[158:159], v[174:175], v[236:239]// 0000000069F4: D3D700EC 0FB35D9E
	s_waitcnt vmcnt(25)                                        // 0000000069FC: BF8C4F79
	v_mfma_i32_16x16x32_i8 v[240:243], a[160:161], v[128:129], 0// 000000006A00: D3D700F0 0A0301A0
	v_mfma_i32_16x16x32_i8 v[240:243], a[162:163], v[130:131], v[240:243]// 000000006A08: D3D700F0 0FC305A2
	buffer_load_dwordx4 a[32:35], v44, s[12:15], 0 offen       // 000000006A10: E05C1000 8083202C
	v_mfma_i32_16x16x32_i8 v[240:243], a[164:165], v[132:133], v[240:243]// 000000006A18: D3D700F0 0FC309A4
	v_mfma_i32_16x16x32_i8 v[240:243], a[166:167], v[134:135], v[240:243]// 000000006A20: D3D700F0 0FC30DA6
	v_mfma_i32_16x16x32_i8 v[240:243], a[168:169], v[136:137], v[240:243]// 000000006A28: D3D700F0 0FC311A8
	v_mfma_i32_16x16x32_i8 v[240:243], a[170:171], v[138:139], v[240:243]// 000000006A30: D3D700F0 0FC315AA
	buffer_load_dwordx4 a[36:39], v44, s[12:15], 0 offen offset:1024// 000000006A38: E05C1400 8083242C
	v_mfma_i32_16x16x32_i8 v[240:243], a[172:173], v[140:141], v[240:243]// 000000006A40: D3D700F0 0FC319AC
	v_mfma_i32_16x16x32_i8 v[240:243], a[174:175], v[142:143], v[240:243]// 000000006A48: D3D700F0 0FC31DAE
	v_mfma_i32_16x16x32_i8 v[244:247], a[160:161], v[160:161], 0// 000000006A50: D3D700F4 0A0341A0
	v_mfma_i32_16x16x32_i8 v[244:247], a[162:163], v[162:163], v[244:247]// 000000006A58: D3D700F4 0FD345A2
	buffer_load_dwordx4 a[40:43], v44, s[12:15], 0 offen offset:2048// 000000006A60: E05C1800 8083282C
	v_mfma_i32_16x16x32_i8 v[244:247], a[164:165], v[164:165], v[244:247]// 000000006A68: D3D700F4 0FD349A4
	v_mfma_i32_16x16x32_i8 v[244:247], a[166:167], v[166:167], v[244:247]// 000000006A70: D3D700F4 0FD34DA6
	v_mfma_i32_16x16x32_i8 v[244:247], a[168:169], v[168:169], v[244:247]// 000000006A78: D3D700F4 0FD351A8
	v_mfma_i32_16x16x32_i8 v[244:247], a[170:171], v[170:171], v[244:247]// 000000006A80: D3D700F4 0FD355AA
	buffer_load_dwordx4 a[44:47], v44, s[12:15], 0 offen offset:3072// 000000006A88: E05C1C00 80832C2C
	v_mfma_i32_16x16x32_i8 v[244:247], a[172:173], v[172:173], v[244:247]// 000000006A90: D3D700F4 0FD359AC
	v_mfma_i32_16x16x32_i8 v[244:247], a[174:175], v[174:175], v[244:247]// 000000006A98: D3D700F4 0FD35DAE
	v_mfma_i32_16x16x32_i8 v[248:251], a[176:177], v[128:129], 0// 000000006AA0: D3D700F8 0A0301B0
	v_mfma_i32_16x16x32_i8 v[248:251], a[178:179], v[130:131], v[248:251]// 000000006AA8: D3D700F8 0FE305B2
	buffer_load_dwordx4 a[48:51], v45, s[12:15], 0 offen       // 000000006AB0: E05C1000 8083302D
	v_mfma_i32_16x16x32_i8 v[248:251], a[180:181], v[132:133], v[248:251]// 000000006AB8: D3D700F8 0FE309B4
	v_mfma_i32_16x16x32_i8 v[248:251], a[182:183], v[134:135], v[248:251]// 000000006AC0: D3D700F8 0FE30DB6
	v_mfma_i32_16x16x32_i8 v[248:251], a[184:185], v[136:137], v[248:251]// 000000006AC8: D3D700F8 0FE311B8
	v_mfma_i32_16x16x32_i8 v[248:251], a[186:187], v[138:139], v[248:251]// 000000006AD0: D3D700F8 0FE315BA
	buffer_load_dwordx4 a[52:55], v45, s[12:15], 0 offen offset:1024// 000000006AD8: E05C1400 8083342D
	v_mfma_i32_16x16x32_i8 v[248:251], a[188:189], v[140:141], v[248:251]// 000000006AE0: D3D700F8 0FE319BC
	v_mfma_i32_16x16x32_i8 v[248:251], a[190:191], v[142:143], v[248:251]// 000000006AE8: D3D700F8 0FE31DBE
	v_mfma_i32_16x16x32_i8 v[252:255], a[176:177], v[160:161], 0// 000000006AF0: D3D700FC 0A0341B0
	v_mfma_i32_16x16x32_i8 v[252:255], a[178:179], v[162:163], v[252:255]// 000000006AF8: D3D700FC 0FF345B2
	buffer_load_dwordx4 a[56:59], v45, s[12:15], 0 offen offset:2048// 000000006B00: E05C1800 8083382D
	v_mfma_i32_16x16x32_i8 v[252:255], a[180:181], v[164:165], v[252:255]// 000000006B08: D3D700FC 0FF349B4
	v_mfma_i32_16x16x32_i8 v[252:255], a[182:183], v[166:167], v[252:255]// 000000006B10: D3D700FC 0FF34DB6
	v_mfma_i32_16x16x32_i8 v[252:255], a[184:185], v[168:169], v[252:255]// 000000006B18: D3D700FC 0FF351B8
	v_mfma_i32_16x16x32_i8 v[252:255], a[186:187], v[170:171], v[252:255]// 000000006B20: D3D700FC 0FF355BA
	buffer_load_dwordx4 a[60:63], v45, s[12:15], 0 offen offset:3072// 000000006B28: E05C1C00 80833C2D
	s_add_u32 s12, s78, s12                                    // 000000006B30: 800C0C4E
	s_addc_u32 s13, 0, s13                                     // 000000006B34: 820D0D80
	v_mfma_i32_16x16x32_i8 v[252:255], a[188:189], v[172:173], v[252:255]// 000000006B38: D3D700FC 0FF359BC
	v_mfma_i32_16x16x32_i8 v[252:255], a[190:191], v[174:175], v[252:255]// 000000006B40: D3D700FC 0FF35DBE
	s_waitcnt vmcnt(25)                                        // 000000006B48: BF8C4F79
	v_mfma_i32_16x16x32_i8 v[224:227], a[192:193], v[144:145], v[224:227]// 000000006B4C: D3D700E0 0F8321C0
	ds_write_b64 v3, v[192:193] offset:18688                   // 000000006B54: D89A4900 0000C003
	v_mfma_i32_16x16x32_i8 v[224:227], a[194:195], v[146:147], v[224:227]// 000000006B5C: D3D700E0 0F8325C2
	buffer_load_dwordx4 a[64:67], v42, s[12:15], 0 offen       // 000000006B64: E05C1000 8083402A
	v_mfma_i32_16x16x32_i8 v[224:227], a[196:197], v[148:149], v[224:227]// 000000006B6C: D3D700E0 0F8329C4
	ds_write_b64 v3, v[194:195] offset:27392                   // 000000006B74: D89A6B00 0000C203
	v_mfma_i32_16x16x32_i8 v[224:227], a[198:199], v[150:151], v[224:227]// 000000006B7C: D3D700E0 0F832DC6
	v_mfma_i32_16x16x32_i8 v[224:227], a[200:201], v[152:153], v[224:227]// 000000006B84: D3D700E0 0F8331C8
	ds_write_b64 v3, v[196:197] offset:20864                   // 000000006B8C: D89A5180 0000C403
	v_mfma_i32_16x16x32_i8 v[224:227], a[202:203], v[154:155], v[224:227]// 000000006B94: D3D700E0 0F8335CA
	buffer_load_dwordx4 a[68:71], v42, s[12:15], 0 offen offset:1024// 000000006B9C: E05C1400 8083442A
	v_mfma_i32_16x16x32_i8 v[224:227], a[204:205], v[156:157], v[224:227]// 000000006BA4: D3D700E0 0F8339CC
	ds_write_b64 v3, v[198:199] offset:29568                   // 000000006BAC: D89A7380 0000C603
	v_mfma_i32_16x16x32_i8 v[224:227], a[206:207], v[158:159], v[224:227]// 000000006BB4: D3D700E0 0F833DCE
	v_mfma_i32_16x16x32_i8 v[228:231], a[192:193], v[176:177], v[228:231]// 000000006BBC: D3D700E4 0F9361C0
	ds_write_b64 v3, v[200:201] offset:23040                   // 000000006BC4: D89A5A00 0000C803
	v_mfma_i32_16x16x32_i8 v[228:231], a[194:195], v[178:179], v[228:231]// 000000006BCC: D3D700E4 0F9365C2
	buffer_load_dwordx4 a[72:75], v42, s[12:15], 0 offen offset:2048// 000000006BD4: E05C1800 8083482A
	v_mfma_i32_16x16x32_i8 v[228:231], a[196:197], v[180:181], v[228:231]// 000000006BDC: D3D700E4 0F9369C4
	ds_write_b64 v3, v[202:203] offset:31744                   // 000000006BE4: D89A7C00 0000CA03
	v_mfma_i32_16x16x32_i8 v[228:231], a[198:199], v[182:183], v[228:231]// 000000006BEC: D3D700E4 0F936DC6
	v_mfma_i32_16x16x32_i8 v[228:231], a[200:201], v[184:185], v[228:231]// 000000006BF4: D3D700E4 0F9371C8
	ds_write_b64 v3, v[204:205] offset:25216                   // 000000006BFC: D89A6280 0000CC03
	v_mfma_i32_16x16x32_i8 v[228:231], a[202:203], v[186:187], v[228:231]// 000000006C04: D3D700E4 0F9375CA
	buffer_load_dwordx4 a[76:79], v42, s[12:15], 0 offen offset:3072// 000000006C0C: E05C1C00 80834C2A
	v_mfma_i32_16x16x32_i8 v[228:231], a[204:205], v[188:189], v[228:231]// 000000006C14: D3D700E4 0F9379CC
	ds_write_b64 v3, v[206:207] offset:33920                   // 000000006C1C: D89A8480 0000CE03
	v_mfma_i32_16x16x32_i8 v[228:231], a[206:207], v[190:191], v[228:231]// 000000006C24: D3D700E4 0F937DCE
	v_mfma_i32_16x16x32_i8 v[232:235], a[208:209], v[144:145], v[232:235]// 000000006C2C: D3D700E8 0FA321D0
	v_mfma_i32_16x16x32_i8 v[232:235], a[210:211], v[146:147], v[232:235]// 000000006C34: D3D700E8 0FA325D2
	buffer_load_dwordx4 a[80:83], v43, s[12:15], 0 offen       // 000000006C3C: E05C1000 8083502B
	v_mfma_i32_16x16x32_i8 v[232:235], a[212:213], v[148:149], v[232:235]// 000000006C44: D3D700E8 0FA329D4
	v_mfma_i32_16x16x32_i8 v[232:235], a[214:215], v[150:151], v[232:235]// 000000006C4C: D3D700E8 0FA32DD6
	v_mfma_i32_16x16x32_i8 v[232:235], a[216:217], v[152:153], v[232:235]// 000000006C54: D3D700E8 0FA331D8
	v_mfma_i32_16x16x32_i8 v[232:235], a[218:219], v[154:155], v[232:235]// 000000006C5C: D3D700E8 0FA335DA
	buffer_load_dwordx4 a[84:87], v43, s[12:15], 0 offen offset:1024// 000000006C64: E05C1400 8083542B
	v_mfma_i32_16x16x32_i8 v[232:235], a[220:221], v[156:157], v[232:235]// 000000006C6C: D3D700E8 0FA339DC
	v_mfma_i32_16x16x32_i8 v[232:235], a[222:223], v[158:159], v[232:235]// 000000006C74: D3D700E8 0FA33DDE
	v_mfma_i32_16x16x32_i8 v[236:239], a[208:209], v[176:177], v[236:239]// 000000006C7C: D3D700EC 0FB361D0
	v_mfma_i32_16x16x32_i8 v[236:239], a[210:211], v[178:179], v[236:239]// 000000006C84: D3D700EC 0FB365D2
	buffer_load_dwordx4 a[88:91], v43, s[12:15], 0 offen offset:2048// 000000006C8C: E05C1800 8083582B
	v_mfma_i32_16x16x32_i8 v[236:239], a[212:213], v[180:181], v[236:239]// 000000006C94: D3D700EC 0FB369D4
	v_mfma_i32_16x16x32_i8 v[236:239], a[214:215], v[182:183], v[236:239]// 000000006C9C: D3D700EC 0FB36DD6
	v_mfma_i32_16x16x32_i8 v[236:239], a[216:217], v[184:185], v[236:239]// 000000006CA4: D3D700EC 0FB371D8
	v_mfma_i32_16x16x32_i8 v[236:239], a[218:219], v[186:187], v[236:239]// 000000006CAC: D3D700EC 0FB375DA
	buffer_load_dwordx4 a[92:95], v43, s[12:15], 0 offen offset:3072// 000000006CB4: E05C1C00 80835C2B
	v_mfma_i32_16x16x32_i8 v[236:239], a[220:221], v[188:189], v[236:239]// 000000006CBC: D3D700EC 0FB379DC
	v_mfma_i32_16x16x32_i8 v[236:239], a[222:223], v[190:191], v[236:239]// 000000006CC4: D3D700EC 0FB37DDE
	s_waitcnt vmcnt(24)                                        // 000000006CCC: BF8C4F78
	v_mfma_i32_16x16x32_i8 v[240:243], a[224:225], v[144:145], v[240:243]// 000000006CD0: D3D700F0 0FC321E0
	v_mfma_i32_16x16x32_i8 v[240:243], a[226:227], v[146:147], v[240:243]// 000000006CD8: D3D700F0 0FC325E2
	buffer_load_dwordx4 a[96:99], v44, s[12:15], 0 offen       // 000000006CE0: E05C1000 8083602C
	v_mfma_i32_16x16x32_i8 v[240:243], a[228:229], v[148:149], v[240:243]// 000000006CE8: D3D700F0 0FC329E4
	v_mfma_i32_16x16x32_i8 v[240:243], a[230:231], v[150:151], v[240:243]// 000000006CF0: D3D700F0 0FC32DE6
	buffer_load_dword v12, v5, s[16:19], 0 offen               // 000000006CF8: E0501000 80040C05
	v_mfma_i32_16x16x32_i8 v[240:243], a[232:233], v[152:153], v[240:243]// 000000006D00: D3D700F0 0FC331E8
	v_mfma_i32_16x16x32_i8 v[240:243], a[234:235], v[154:155], v[240:243]// 000000006D08: D3D700F0 0FC335EA
	buffer_load_dwordx4 a[100:103], v44, s[12:15], 0 offen offset:1024// 000000006D10: E05C1400 8083642C
	v_mfma_i32_16x16x32_i8 v[240:243], a[236:237], v[156:157], v[240:243]// 000000006D18: D3D700F0 0FC339EC
	v_mfma_i32_16x16x32_i8 v[240:243], a[238:239], v[158:159], v[240:243]// 000000006D20: D3D700F0 0FC33DEE
	v_mfma_i32_16x16x32_i8 v[244:247], a[224:225], v[176:177], v[244:247]// 000000006D28: D3D700F4 0FD361E0
	v_mfma_i32_16x16x32_i8 v[244:247], a[226:227], v[178:179], v[244:247]// 000000006D30: D3D700F4 0FD365E2
	buffer_load_dwordx4 a[104:107], v44, s[12:15], 0 offen offset:2048// 000000006D38: E05C1800 8083682C
	v_mfma_i32_16x16x32_i8 v[244:247], a[228:229], v[180:181], v[244:247]// 000000006D40: D3D700F4 0FD369E4
	s_add_u32 s60, 0x200, s80                                  // 000000006D48: 803C50FF 00000200
	s_cmp_lt_u32 s60, s81                                      // 000000006D50: BF0A513C
	v_mfma_i32_16x16x32_i8 v[244:247], a[230:231], v[182:183], v[244:247]// 000000006D54: D3D700F4 0FD36DE6
	s_cselect_b32 s56, s56, 0                                  // 000000006D5C: 85388038
	s_cselect_b32 s78, s78, 0                                  // 000000006D60: 854E804E
	s_cselect_b32 s79, s79, 0                                  // 000000006D64: 854F804F
	v_mfma_i32_16x16x32_i8 v[244:247], a[232:233], v[184:185], v[244:247]// 000000006D68: D3D700F4 0FD371E8
	v_mfma_i32_16x16x32_i8 v[244:247], a[234:235], v[186:187], v[244:247]// 000000006D70: D3D700F4 0FD375EA
	buffer_load_dwordx4 a[108:111], v44, s[12:15], 0 offen offset:3072// 000000006D78: E05C1C00 80836C2C
	v_mfma_i32_16x16x32_i8 v[244:247], a[236:237], v[188:189], v[244:247]// 000000006D80: D3D700F4 0FD379EC
	s_add_u32 s16, s79, s16                                    // 000000006D88: 8010104F
	s_addc_u32 s17, 0, s17                                     // 000000006D8C: 82111180
	v_mfma_i32_16x16x32_i8 v[244:247], a[238:239], v[190:191], v[244:247]// 000000006D90: D3D700F4 0FD37DEE
	v_mfma_i32_16x16x32_i8 v[248:251], a[240:241], v[144:145], v[248:251]// 000000006D98: D3D700F8 0FE321F0
	v_mfma_i32_16x16x32_i8 v[248:251], a[242:243], v[146:147], v[248:251]// 000000006DA0: D3D700F8 0FE325F2
	buffer_load_dwordx4 a[112:115], v45, s[12:15], 0 offen     // 000000006DA8: E05C1000 8083702D
	v_mfma_i32_16x16x32_i8 v[248:251], a[244:245], v[148:149], v[248:251]// 000000006DB0: D3D700F8 0FE329F4
	v_mfma_i32_16x16x32_i8 v[248:251], a[246:247], v[150:151], v[248:251]// 000000006DB8: D3D700F8 0FE32DF6
	v_mfma_i32_16x16x32_i8 v[248:251], a[248:249], v[152:153], v[248:251]// 000000006DC0: D3D700F8 0FE331F8
	v_mfma_i32_16x16x32_i8 v[248:251], a[250:251], v[154:155], v[248:251]// 000000006DC8: D3D700F8 0FE335FA
	buffer_load_dwordx4 a[116:119], v45, s[12:15], 0 offen offset:1024// 000000006DD0: E05C1400 8083742D
	v_mfma_i32_16x16x32_i8 v[248:251], a[252:253], v[156:157], v[248:251]// 000000006DD8: D3D700F8 0FE339FC
	v_mfma_i32_16x16x32_i8 v[248:251], a[254:255], v[158:159], v[248:251]// 000000006DE0: D3D700F8 0FE33DFE
	v_mfma_i32_16x16x32_i8 v[252:255], a[240:241], v[176:177], v[252:255]// 000000006DE8: D3D700FC 0FF361F0
	v_mfma_i32_16x16x32_i8 v[252:255], a[242:243], v[178:179], v[252:255]// 000000006DF0: D3D700FC 0FF365F2
	buffer_load_dwordx4 a[120:123], v45, s[12:15], 0 offen offset:2048// 000000006DF8: E05C1800 8083782D
	v_mfma_i32_16x16x32_i8 v[252:255], a[244:245], v[180:181], v[252:255]// 000000006E00: D3D700FC 0FF369F4
	v_mfma_i32_16x16x32_i8 v[252:255], a[246:247], v[182:183], v[252:255]// 000000006E08: D3D700FC 0FF36DF6
	v_mfma_i32_16x16x32_i8 v[252:255], a[248:249], v[184:185], v[252:255]// 000000006E10: D3D700FC 0FF371F8
	v_mfma_i32_16x16x32_i8 v[252:255], a[250:251], v[186:187], v[252:255]// 000000006E18: D3D700FC 0FF375FA
	buffer_load_dwordx4 a[124:127], v45, s[12:15], 0 offen offset:3072// 000000006E20: E05C1C00 80837C2D
	v_mfma_i32_16x16x32_i8 v[252:255], a[252:253], v[188:189], v[252:255]// 000000006E28: D3D700FC 0FF379FC
	s_add_u32 s12, s56, s12                                    // 000000006E30: 800C0C38
	s_addc_u32 s13, 0, s13                                     // 000000006E34: 820D0D80
	v_mfma_i32_16x16x32_i8 v[252:255], a[254:255], v[190:191], v[252:255]// 000000006E38: D3D700FC 0FF37DFE
	v_mov_b32_e32 v96, v24                                     // 000000006E40: 7EC00318
	v_mov_b32_e32 v100, v20                                    // 000000006E44: 7EC80314
	v_mov_b32_e32 v97, v24                                     // 000000006E48: 7EC20318
	v_mov_b32_e32 v101, v20                                    // 000000006E4C: 7ECA0314
	v_mov_b32_e32 v98, v25                                     // 000000006E50: 7EC40319
	v_mov_b32_e32 v102, v21                                    // 000000006E54: 7ECC0315
	v_mov_b32_e32 v99, v25                                     // 000000006E58: 7EC60319
	v_mov_b32_e32 v103, v21                                    // 000000006E5C: 7ECE0315
	v_cvt_f32_i32_e32 v224, v224                               // 000000006E60: 7FC00BE0
	v_cvt_f32_i32_e32 v225, v225                               // 000000006E64: 7FC20BE1
	v_cvt_f32_i32_e32 v226, v226                               // 000000006E68: 7FC40BE2
	v_cvt_f32_i32_e32 v227, v227                               // 000000006E6C: 7FC60BE3
	v_pk_mul_f32 v[224:225], v[96:97], v[224:225]              // 000000006E70: D3B140E0 1803C160
	v_pk_mul_f32 v[226:227], v[96:97], v[226:227]              // 000000006E78: D3B140E2 1803C560
	v_mul_f32_dpp v224, v13, v224 row_newbcast:0 row_mask:0xf bank_mask:0xf// 000000006E80: 0BC1C0FA FF01500D
	v_mul_f32_dpp v225, v13, v225 row_newbcast:1 row_mask:0xf bank_mask:0xf// 000000006E88: 0BC3C2FA FF01510D
	v_mul_f32_dpp v226, v13, v226 row_newbcast:2 row_mask:0xf bank_mask:0xf// 000000006E90: 0BC5C4FA FF01520D
	v_mul_f32_dpp v227, v13, v227 row_newbcast:3 row_mask:0xf bank_mask:0xf// 000000006E98: 0BC7C6FA FF01530D
	v_pk_mul_f32 v[224:225], v[100:101], v[224:225]            // 000000006EA0: D3B140E0 1803C164
	v_pk_mul_f32 v[226:227], v[100:101], v[226:227]            // 000000006EA8: D3B140E2 1803C564
	v_cvt_f32_i32_e32 v228, v228                               // 000000006EB0: 7FC80BE4
	v_cvt_f32_i32_e32 v229, v229                               // 000000006EB4: 7FCA0BE5
	v_cvt_f32_i32_e32 v230, v230                               // 000000006EB8: 7FCC0BE6
	v_cvt_f32_i32_e32 v231, v231                               // 000000006EBC: 7FCE0BE7
	v_pk_mul_f32 v[228:229], v[98:99], v[228:229]              // 000000006EC0: D3B140E4 1803C962
	v_pk_mul_f32 v[230:231], v[98:99], v[230:231]              // 000000006EC8: D3B140E6 1803CD62
	v_mul_f32_dpp v228, v13, v228 row_newbcast:0 row_mask:0xf bank_mask:0xf// 000000006ED0: 0BC9C8FA FF01500D
	v_mul_f32_dpp v229, v13, v229 row_newbcast:1 row_mask:0xf bank_mask:0xf// 000000006ED8: 0BCBCAFA FF01510D
	v_mul_f32_dpp v230, v13, v230 row_newbcast:2 row_mask:0xf bank_mask:0xf// 000000006EE0: 0BCDCCFA FF01520D
	v_mul_f32_dpp v231, v13, v231 row_newbcast:3 row_mask:0xf bank_mask:0xf// 000000006EE8: 0BCFCEFA FF01530D
	v_pk_mul_f32 v[228:229], v[102:103], v[228:229]            // 000000006EF0: D3B140E4 1803C966
	v_pk_mul_f32 v[230:231], v[102:103], v[230:231]            // 000000006EF8: D3B140E6 1803CD66
	v_cvt_f32_i32_e32 v232, v232                               // 000000006F00: 7FD00BE8
	v_cvt_f32_i32_e32 v233, v233                               // 000000006F04: 7FD20BE9
	v_cvt_f32_i32_e32 v234, v234                               // 000000006F08: 7FD40BEA
	v_cvt_f32_i32_e32 v235, v235                               // 000000006F0C: 7FD60BEB
	v_pk_mul_f32 v[232:233], v[96:97], v[232:233]              // 000000006F10: D3B140E8 1803D160
	v_pk_mul_f32 v[234:235], v[96:97], v[234:235]              // 000000006F18: D3B140EA 1803D560
	v_mul_f32_dpp v232, v13, v232 row_newbcast:4 row_mask:0xf bank_mask:0xf// 000000006F20: 0BD1D0FA FF01540D
	v_mul_f32_dpp v233, v13, v233 row_newbcast:5 row_mask:0xf bank_mask:0xf// 000000006F28: 0BD3D2FA FF01550D
	v_mul_f32_dpp v234, v13, v234 row_newbcast:6 row_mask:0xf bank_mask:0xf// 000000006F30: 0BD5D4FA FF01560D
	v_mul_f32_dpp v235, v13, v235 row_newbcast:7 row_mask:0xf bank_mask:0xf// 000000006F38: 0BD7D6FA FF01570D
	v_pk_mul_f32 v[232:233], v[100:101], v[232:233]            // 000000006F40: D3B140E8 1803D164
	v_pk_mul_f32 v[234:235], v[100:101], v[234:235]            // 000000006F48: D3B140EA 1803D564
	v_cvt_f32_i32_e32 v236, v236                               // 000000006F50: 7FD80BEC
	v_cvt_f32_i32_e32 v237, v237                               // 000000006F54: 7FDA0BED
	v_cvt_f32_i32_e32 v238, v238                               // 000000006F58: 7FDC0BEE
	v_cvt_f32_i32_e32 v239, v239                               // 000000006F5C: 7FDE0BEF
	v_pk_mul_f32 v[236:237], v[98:99], v[236:237]              // 000000006F60: D3B140EC 1803D962
	v_pk_mul_f32 v[238:239], v[98:99], v[238:239]              // 000000006F68: D3B140EE 1803DD62
	v_mul_f32_dpp v236, v13, v236 row_newbcast:4 row_mask:0xf bank_mask:0xf// 000000006F70: 0BD9D8FA FF01540D
	v_mul_f32_dpp v237, v13, v237 row_newbcast:5 row_mask:0xf bank_mask:0xf// 000000006F78: 0BDBDAFA FF01550D
	v_mul_f32_dpp v238, v13, v238 row_newbcast:6 row_mask:0xf bank_mask:0xf// 000000006F80: 0BDDDCFA FF01560D
	v_mul_f32_dpp v239, v13, v239 row_newbcast:7 row_mask:0xf bank_mask:0xf// 000000006F88: 0BDFDEFA FF01570D
	v_pk_mul_f32 v[236:237], v[102:103], v[236:237]            // 000000006F90: D3B140EC 1803D966
	v_pk_mul_f32 v[238:239], v[102:103], v[238:239]            // 000000006F98: D3B140EE 1803DD66
	v_cvt_f32_i32_e32 v240, v240                               // 000000006FA0: 7FE00BF0
	v_cvt_f32_i32_e32 v241, v241                               // 000000006FA4: 7FE20BF1
	v_cvt_f32_i32_e32 v242, v242                               // 000000006FA8: 7FE40BF2
	v_cvt_f32_i32_e32 v243, v243                               // 000000006FAC: 7FE60BF3
	v_pk_mul_f32 v[240:241], v[96:97], v[240:241]              // 000000006FB0: D3B140F0 1803E160
	v_pk_mul_f32 v[242:243], v[96:97], v[242:243]              // 000000006FB8: D3B140F2 1803E560
	v_mul_f32_dpp v240, v13, v240 row_newbcast:8 row_mask:0xf bank_mask:0xf// 000000006FC0: 0BE1E0FA FF01580D
	v_mul_f32_dpp v241, v13, v241 row_newbcast:9 row_mask:0xf bank_mask:0xf// 000000006FC8: 0BE3E2FA FF01590D
	v_mul_f32_dpp v242, v13, v242 row_newbcast:10 row_mask:0xf bank_mask:0xf// 000000006FD0: 0BE5E4FA FF015A0D
	v_mul_f32_dpp v243, v13, v243 row_newbcast:11 row_mask:0xf bank_mask:0xf// 000000006FD8: 0BE7E6FA FF015B0D
	v_pk_mul_f32 v[240:241], v[100:101], v[240:241]            // 000000006FE0: D3B140F0 1803E164
	v_pk_mul_f32 v[242:243], v[100:101], v[242:243]            // 000000006FE8: D3B140F2 1803E564
	v_cvt_f32_i32_e32 v244, v244                               // 000000006FF0: 7FE80BF4
	v_cvt_f32_i32_e32 v245, v245                               // 000000006FF4: 7FEA0BF5
	v_cvt_f32_i32_e32 v246, v246                               // 000000006FF8: 7FEC0BF6
	v_cvt_f32_i32_e32 v247, v247                               // 000000006FFC: 7FEE0BF7
	v_pk_mul_f32 v[244:245], v[98:99], v[244:245]              // 000000007000: D3B140F4 1803E962
	v_pk_mul_f32 v[246:247], v[98:99], v[246:247]              // 000000007008: D3B140F6 1803ED62
	v_mul_f32_dpp v244, v13, v244 row_newbcast:8 row_mask:0xf bank_mask:0xf// 000000007010: 0BE9E8FA FF01580D
	v_mul_f32_dpp v245, v13, v245 row_newbcast:9 row_mask:0xf bank_mask:0xf// 000000007018: 0BEBEAFA FF01590D
	v_mul_f32_dpp v246, v13, v246 row_newbcast:10 row_mask:0xf bank_mask:0xf// 000000007020: 0BEDECFA FF015A0D
	v_mul_f32_dpp v247, v13, v247 row_newbcast:11 row_mask:0xf bank_mask:0xf// 000000007028: 0BEFEEFA FF015B0D
	v_pk_mul_f32 v[244:245], v[102:103], v[244:245]            // 000000007030: D3B140F4 1803E966
	v_pk_mul_f32 v[246:247], v[102:103], v[246:247]            // 000000007038: D3B140F6 1803ED66
	v_cvt_f32_i32_e32 v248, v248                               // 000000007040: 7FF00BF8
	v_cvt_f32_i32_e32 v249, v249                               // 000000007044: 7FF20BF9
	v_cvt_f32_i32_e32 v250, v250                               // 000000007048: 7FF40BFA
	v_cvt_f32_i32_e32 v251, v251                               // 00000000704C: 7FF60BFB
	v_pk_mul_f32 v[248:249], v[96:97], v[248:249]              // 000000007050: D3B140F8 1803F160
	v_pk_mul_f32 v[250:251], v[96:97], v[250:251]              // 000000007058: D3B140FA 1803F560
	v_mul_f32_dpp v248, v13, v248 row_newbcast:12 row_mask:0xf bank_mask:0xf// 000000007060: 0BF1F0FA FF015C0D
	v_mul_f32_dpp v249, v13, v249 row_newbcast:13 row_mask:0xf bank_mask:0xf// 000000007068: 0BF3F2FA FF015D0D
	v_mul_f32_dpp v250, v13, v250 row_newbcast:14 row_mask:0xf bank_mask:0xf// 000000007070: 0BF5F4FA FF015E0D
	v_mul_f32_dpp v251, v13, v251 row_newbcast:15 row_mask:0xf bank_mask:0xf// 000000007078: 0BF7F6FA FF015F0D
	v_pk_mul_f32 v[248:249], v[100:101], v[248:249]            // 000000007080: D3B140F8 1803F164
	v_pk_mul_f32 v[250:251], v[100:101], v[250:251]            // 000000007088: D3B140FA 1803F564
	v_cvt_f32_i32_e32 v252, v252                               // 000000007090: 7FF80BFC
	v_cvt_f32_i32_e32 v253, v253                               // 000000007094: 7FFA0BFD
	v_cvt_f32_i32_e32 v254, v254                               // 000000007098: 7FFC0BFE
	v_cvt_f32_i32_e32 v255, v255                               // 00000000709C: 7FFE0BFF
	v_pk_mul_f32 v[252:253], v[98:99], v[252:253]              // 0000000070A0: D3B140FC 1803F962
	v_pk_mul_f32 v[254:255], v[98:99], v[254:255]              // 0000000070A8: D3B140FE 1803FD62
	v_mul_f32_dpp v252, v13, v252 row_newbcast:12 row_mask:0xf bank_mask:0xf// 0000000070B0: 0BF9F8FA FF015C0D
	v_mul_f32_dpp v253, v13, v253 row_newbcast:13 row_mask:0xf bank_mask:0xf// 0000000070B8: 0BFBFAFA FF015D0D
	v_mul_f32_dpp v254, v13, v254 row_newbcast:14 row_mask:0xf bank_mask:0xf// 0000000070C0: 0BFDFCFA FF015E0D
	v_mul_f32_dpp v255, v13, v255 row_newbcast:15 row_mask:0xf bank_mask:0xf// 0000000070C8: 0BFFFEFA FF015F0D
	v_pk_mul_f32 v[252:253], v[102:103], v[252:253]            // 0000000070D0: D3B140FC 1803F966
	v_pk_mul_f32 v[254:255], v[102:103], v[254:255]            // 0000000070D8: D3B140FE 1803FD66
	v_cmp_u_f32_e64 s[48:49], v224, v224                       // 0000000070E0: D0480030 0003C1E0
	v_add3_u32 v50, v224, v53, 1                               // 0000000070E8: D1FF0032 02066BE0
	v_cndmask_b32_e64 v54, v50, v52, s[48:49]                  // 0000000070F0: D1000036 00C26932
	v_cmp_u_f32_e64 s[48:49], v225, v225                       // 0000000070F8: D0480030 0003C3E1
	v_add3_u32 v50, v225, v53, 1                               // 000000007100: D1FF0032 02066BE1
	v_cndmask_b32_e64 v55, v50, v52, s[48:49]                  // 000000007108: D1000037 00C26932
	v_perm_b32 v224, v55, v54, s52                             // 000000007110: D1ED00E0 00D26D37
	v_cmp_u_f32_e64 s[48:49], v226, v226                       // 000000007118: D0480030 0003C5E2
	v_add3_u32 v50, v226, v53, 1                               // 000000007120: D1FF0032 02066BE2
	v_cndmask_b32_e64 v54, v50, v52, s[48:49]                  // 000000007128: D1000036 00C26932
	v_cmp_u_f32_e64 s[48:49], v227, v227                       // 000000007130: D0480030 0003C7E3
	v_add3_u32 v50, v227, v53, 1                               // 000000007138: D1FF0032 02066BE3
	v_cndmask_b32_e64 v55, v50, v52, s[48:49]                  // 000000007140: D1000037 00C26932
	v_perm_b32 v225, v55, v54, s52                             // 000000007148: D1ED00E1 00D26D37
	v_cmp_u_f32_e64 s[48:49], v228, v228                       // 000000007150: D0480030 0003C9E4
	v_add3_u32 v50, v228, v53, 1                               // 000000007158: D1FF0032 02066BE4
	v_cndmask_b32_e64 v54, v50, v52, s[48:49]                  // 000000007160: D1000036 00C26932
	v_cmp_u_f32_e64 s[48:49], v229, v229                       // 000000007168: D0480030 0003CBE5
	v_add3_u32 v50, v229, v53, 1                               // 000000007170: D1FF0032 02066BE5
	v_cndmask_b32_e64 v55, v50, v52, s[48:49]                  // 000000007178: D1000037 00C26932
	v_perm_b32 v226, v55, v54, s52                             // 000000007180: D1ED00E2 00D26D37
	v_cmp_u_f32_e64 s[48:49], v230, v230                       // 000000007188: D0480030 0003CDE6
	v_add3_u32 v50, v230, v53, 1                               // 000000007190: D1FF0032 02066BE6
	v_cndmask_b32_e64 v54, v50, v52, s[48:49]                  // 000000007198: D1000036 00C26932
	v_cmp_u_f32_e64 s[48:49], v231, v231                       // 0000000071A0: D0480030 0003CFE7
	v_add3_u32 v50, v231, v53, 1                               // 0000000071A8: D1FF0032 02066BE7
	v_cndmask_b32_e64 v55, v50, v52, s[48:49]                  // 0000000071B0: D1000037 00C26932
	v_perm_b32 v227, v55, v54, s52                             // 0000000071B8: D1ED00E3 00D26D37
	v_cmp_u_f32_e64 s[48:49], v232, v232                       // 0000000071C0: D0480030 0003D1E8
	v_add3_u32 v50, v232, v53, 1                               // 0000000071C8: D1FF0032 02066BE8
	v_cndmask_b32_e64 v54, v50, v52, s[48:49]                  // 0000000071D0: D1000036 00C26932
	v_cmp_u_f32_e64 s[48:49], v233, v233                       // 0000000071D8: D0480030 0003D3E9
	v_add3_u32 v50, v233, v53, 1                               // 0000000071E0: D1FF0032 02066BE9
	v_cndmask_b32_e64 v55, v50, v52, s[48:49]                  // 0000000071E8: D1000037 00C26932
	v_perm_b32 v228, v55, v54, s52                             // 0000000071F0: D1ED00E4 00D26D37
	v_cmp_u_f32_e64 s[48:49], v234, v234                       // 0000000071F8: D0480030 0003D5EA
	v_add3_u32 v50, v234, v53, 1                               // 000000007200: D1FF0032 02066BEA
	v_cndmask_b32_e64 v54, v50, v52, s[48:49]                  // 000000007208: D1000036 00C26932
	v_cmp_u_f32_e64 s[48:49], v235, v235                       // 000000007210: D0480030 0003D7EB
	v_add3_u32 v50, v235, v53, 1                               // 000000007218: D1FF0032 02066BEB
	v_cndmask_b32_e64 v55, v50, v52, s[48:49]                  // 000000007220: D1000037 00C26932
	v_perm_b32 v229, v55, v54, s52                             // 000000007228: D1ED00E5 00D26D37
	v_cmp_u_f32_e64 s[48:49], v236, v236                       // 000000007230: D0480030 0003D9EC
	v_add3_u32 v50, v236, v53, 1                               // 000000007238: D1FF0032 02066BEC
	v_cndmask_b32_e64 v54, v50, v52, s[48:49]                  // 000000007240: D1000036 00C26932
	v_cmp_u_f32_e64 s[48:49], v237, v237                       // 000000007248: D0480030 0003DBED
	v_add3_u32 v50, v237, v53, 1                               // 000000007250: D1FF0032 02066BED
	v_cndmask_b32_e64 v55, v50, v52, s[48:49]                  // 000000007258: D1000037 00C26932
	v_perm_b32 v230, v55, v54, s52                             // 000000007260: D1ED00E6 00D26D37
	v_cmp_u_f32_e64 s[48:49], v238, v238                       // 000000007268: D0480030 0003DDEE
	v_add3_u32 v50, v238, v53, 1                               // 000000007270: D1FF0032 02066BEE
	v_cndmask_b32_e64 v54, v50, v52, s[48:49]                  // 000000007278: D1000036 00C26932
	v_cmp_u_f32_e64 s[48:49], v239, v239                       // 000000007280: D0480030 0003DFEF
	v_add3_u32 v50, v239, v53, 1                               // 000000007288: D1FF0032 02066BEF
	v_cndmask_b32_e64 v55, v50, v52, s[48:49]                  // 000000007290: D1000037 00C26932
	v_perm_b32 v231, v55, v54, s52                             // 000000007298: D1ED00E7 00D26D37
	v_cmp_u_f32_e64 s[48:49], v240, v240                       // 0000000072A0: D0480030 0003E1F0
	v_add3_u32 v50, v240, v53, 1                               // 0000000072A8: D1FF0032 02066BF0
	v_cndmask_b32_e64 v54, v50, v52, s[48:49]                  // 0000000072B0: D1000036 00C26932
	v_cmp_u_f32_e64 s[48:49], v241, v241                       // 0000000072B8: D0480030 0003E3F1
	v_add3_u32 v50, v241, v53, 1                               // 0000000072C0: D1FF0032 02066BF1
	v_cndmask_b32_e64 v55, v50, v52, s[48:49]                  // 0000000072C8: D1000037 00C26932
	v_perm_b32 v232, v55, v54, s52                             // 0000000072D0: D1ED00E8 00D26D37
	v_cmp_u_f32_e64 s[48:49], v242, v242                       // 0000000072D8: D0480030 0003E5F2
	v_add3_u32 v50, v242, v53, 1                               // 0000000072E0: D1FF0032 02066BF2
	v_cndmask_b32_e64 v54, v50, v52, s[48:49]                  // 0000000072E8: D1000036 00C26932
	v_cmp_u_f32_e64 s[48:49], v243, v243                       // 0000000072F0: D0480030 0003E7F3
	v_add3_u32 v50, v243, v53, 1                               // 0000000072F8: D1FF0032 02066BF3
	v_cndmask_b32_e64 v55, v50, v52, s[48:49]                  // 000000007300: D1000037 00C26932
	v_perm_b32 v233, v55, v54, s52                             // 000000007308: D1ED00E9 00D26D37
	v_cmp_u_f32_e64 s[48:49], v244, v244                       // 000000007310: D0480030 0003E9F4
	v_add3_u32 v50, v244, v53, 1                               // 000000007318: D1FF0032 02066BF4
	v_cndmask_b32_e64 v54, v50, v52, s[48:49]                  // 000000007320: D1000036 00C26932
	v_cmp_u_f32_e64 s[48:49], v245, v245                       // 000000007328: D0480030 0003EBF5
	v_add3_u32 v50, v245, v53, 1                               // 000000007330: D1FF0032 02066BF5
	v_cndmask_b32_e64 v55, v50, v52, s[48:49]                  // 000000007338: D1000037 00C26932
	v_perm_b32 v234, v55, v54, s52                             // 000000007340: D1ED00EA 00D26D37
	v_cmp_u_f32_e64 s[48:49], v246, v246                       // 000000007348: D0480030 0003EDF6
	v_add3_u32 v50, v246, v53, 1                               // 000000007350: D1FF0032 02066BF6
	v_cndmask_b32_e64 v54, v50, v52, s[48:49]                  // 000000007358: D1000036 00C26932
	v_cmp_u_f32_e64 s[48:49], v247, v247                       // 000000007360: D0480030 0003EFF7
	v_add3_u32 v50, v247, v53, 1                               // 000000007368: D1FF0032 02066BF7
	v_cndmask_b32_e64 v55, v50, v52, s[48:49]                  // 000000007370: D1000037 00C26932
	v_perm_b32 v235, v55, v54, s52                             // 000000007378: D1ED00EB 00D26D37
	v_cmp_u_f32_e64 s[48:49], v248, v248                       // 000000007380: D0480030 0003F1F8
	v_add3_u32 v50, v248, v53, 1                               // 000000007388: D1FF0032 02066BF8
	v_cndmask_b32_e64 v54, v50, v52, s[48:49]                  // 000000007390: D1000036 00C26932
	v_cmp_u_f32_e64 s[48:49], v249, v249                       // 000000007398: D0480030 0003F3F9
	v_add3_u32 v50, v249, v53, 1                               // 0000000073A0: D1FF0032 02066BF9
	v_cndmask_b32_e64 v55, v50, v52, s[48:49]                  // 0000000073A8: D1000037 00C26932
	v_perm_b32 v236, v55, v54, s52                             // 0000000073B0: D1ED00EC 00D26D37
	v_cmp_u_f32_e64 s[48:49], v250, v250                       // 0000000073B8: D0480030 0003F5FA
	v_add3_u32 v50, v250, v53, 1                               // 0000000073C0: D1FF0032 02066BFA
	v_cndmask_b32_e64 v54, v50, v52, s[48:49]                  // 0000000073C8: D1000036 00C26932
	v_cmp_u_f32_e64 s[48:49], v251, v251                       // 0000000073D0: D0480030 0003F7FB
	v_add3_u32 v50, v251, v53, 1                               // 0000000073D8: D1FF0032 02066BFB
	v_cndmask_b32_e64 v55, v50, v52, s[48:49]                  // 0000000073E0: D1000037 00C26932
	v_perm_b32 v237, v55, v54, s52                             // 0000000073E8: D1ED00ED 00D26D37
	v_cmp_u_f32_e64 s[48:49], v252, v252                       // 0000000073F0: D0480030 0003F9FC
	v_add3_u32 v50, v252, v53, 1                               // 0000000073F8: D1FF0032 02066BFC
	v_cndmask_b32_e64 v54, v50, v52, s[48:49]                  // 000000007400: D1000036 00C26932
	v_cmp_u_f32_e64 s[48:49], v253, v253                       // 000000007408: D0480030 0003FBFD
	v_add3_u32 v50, v253, v53, 1                               // 000000007410: D1FF0032 02066BFD
	v_cndmask_b32_e64 v55, v50, v52, s[48:49]                  // 000000007418: D1000037 00C26932
	v_perm_b32 v238, v55, v54, s52                             // 000000007420: D1ED00EE 00D26D37
	v_cmp_u_f32_e64 s[48:49], v254, v254                       // 000000007428: D0480030 0003FDFE
	v_add3_u32 v50, v254, v53, 1                               // 000000007430: D1FF0032 02066BFE
	v_cndmask_b32_e64 v54, v50, v52, s[48:49]                  // 000000007438: D1000036 00C26932
	v_cmp_u_f32_e64 s[48:49], v255, v255                       // 000000007440: D0480030 0003FFFF
	v_add3_u32 v50, v255, v53, 1                               // 000000007448: D1FF0032 02066BFF
	v_cndmask_b32_e64 v55, v50, v52, s[48:49]                  // 000000007450: D1000037 00C26932
	v_perm_b32 v239, v55, v54, s52                             // 000000007458: D1ED00EF 00D26D37
	s_setvskip s20, 0                                          // 000000007460: BF108014
	global_atomic_pk_add_bf16 v80, v64, s[8:9]                 // 000000007464: DD488000 00084050
	s_setvskip 0, 0                                            // 00000000746C: BF108080
	s_setvskip s20, 0                                          // 000000007470: BF108014
	global_atomic_pk_add_bf16 v80, v65, s[8:9] offset:256      // 000000007474: DD488100 00084150
	s_setvskip 0, 0                                            // 00000000747C: BF108080
	s_setvskip s20, 1                                          // 000000007480: BF108114
	global_atomic_pk_add_bf16 v82, v66, s[8:9]                 // 000000007484: DD488000 00084252
	s_setvskip 0, 0                                            // 00000000748C: BF108080
	s_setvskip s20, 1                                          // 000000007490: BF108114
	global_atomic_pk_add_bf16 v82, v67, s[8:9] offset:256      // 000000007494: DD488100 00084352
	s_setvskip 0, 0                                            // 00000000749C: BF108080
	s_setvskip s20, 2                                          // 0000000074A0: BF108214
	global_atomic_pk_add_bf16 v84, v68, s[8:9]                 // 0000000074A4: DD488000 00084454
	s_setvskip 0, 0                                            // 0000000074AC: BF108080
	s_setvskip s20, 2                                          // 0000000074B0: BF108214
	global_atomic_pk_add_bf16 v84, v69, s[8:9] offset:256      // 0000000074B4: DD488100 00084554
	s_setvskip 0, 0                                            // 0000000074BC: BF108080
	s_setvskip s20, 3                                          // 0000000074C0: BF108314
	global_atomic_pk_add_bf16 v86, v70, s[8:9]                 // 0000000074C4: DD488000 00084656
	s_setvskip 0, 0                                            // 0000000074CC: BF108080
	s_setvskip s20, 3                                          // 0000000074D0: BF108314
	global_atomic_pk_add_bf16 v86, v71, s[8:9] offset:256      // 0000000074D4: DD488100 00084756
	s_setvskip 0, 0                                            // 0000000074DC: BF108080
	s_setvskip s20, 4                                          // 0000000074E0: BF108414
	global_atomic_pk_add_bf16 v88, v72, s[8:9]                 // 0000000074E4: DD488000 00084858
	s_setvskip 0, 0                                            // 0000000074EC: BF108080
	s_setvskip s20, 4                                          // 0000000074F0: BF108414
	global_atomic_pk_add_bf16 v88, v73, s[8:9] offset:256      // 0000000074F4: DD488100 00084958
	s_setvskip 0, 0                                            // 0000000074FC: BF108080
	s_setvskip s20, 5                                          // 000000007500: BF108514
	global_atomic_pk_add_bf16 v90, v74, s[8:9]                 // 000000007504: DD488000 00084A5A
	s_setvskip 0, 0                                            // 00000000750C: BF108080
	s_setvskip s20, 5                                          // 000000007510: BF108514
	global_atomic_pk_add_bf16 v90, v75, s[8:9] offset:256      // 000000007514: DD488100 00084B5A
	s_setvskip 0, 0                                            // 00000000751C: BF108080
	s_setvskip s20, 6                                          // 000000007520: BF108614
	global_atomic_pk_add_bf16 v92, v76, s[8:9]                 // 000000007524: DD488000 00084C5C
	s_setvskip 0, 0                                            // 00000000752C: BF108080
	s_setvskip s20, 6                                          // 000000007530: BF108614
	global_atomic_pk_add_bf16 v92, v77, s[8:9] offset:256      // 000000007534: DD488100 00084D5C
	s_setvskip 0, 0                                            // 00000000753C: BF108080
	s_setvskip s20, 7                                          // 000000007540: BF108714
	global_atomic_pk_add_bf16 v94, v78, s[8:9]                 // 000000007544: DD488000 00084E5E
	s_setvskip 0, 0                                            // 00000000754C: BF108080
	s_setvskip s20, 7                                          // 000000007550: BF108714
	global_atomic_pk_add_bf16 v94, v79, s[8:9] offset:256      // 000000007554: DD488100 00084F5E
	s_setvskip 0, 0                                            // 00000000755C: BF108080
	s_cmp_ge_u32 s80, 0x200                                    // 000000007560: BF09FF50 00000200
	s_cselect_b32 s59, 0x200, s59                              // 000000007568: 853B3BFF 00000200
	s_add_u32 s8, s59, s8                                      // 000000007570: 8008083B
	s_addc_u32 s9, 0, s9                                       // 000000007574: 82090980
	s_addk_i32 s80, 0x100                                      // 000000007578: B7500100
	s_cmp_lt_i32 s80, s81                                      // 00000000757C: BF045150
	s_cbranch_scc0 label_12A2                                  // 000000007580: BF840001
	s_branch label_0BF9                                        // 000000007584: BF82F957

0000000000007588 <label_12A2>:
	s_nop 0                                                    // 000000007588: BF800000
	s_nop 0                                                    // 00000000758C: BF800000
	s_branch label_229A                                        // 000000007590: BF820FF5

0000000000007594 <label_12A5>:
	s_waitcnt vmcnt(24) lgkmcnt(0)                             // 000000007594: BF8C4078
	s_barrier                                                  // 000000007598: BF8A0000
	v_mfma_i32_16x16x32_i8 v[128:131], a[0:1], v[192:193], v[128:131]// 00000000759C: D3D70080 0E038100
	buffer_load_dwordx4 a[128:131], v34, s[24:27], 0 offen     // 0000000075A4: E05C1000 80868022
	v_mfma_i32_16x16x32_i8 v[128:131], a[2:3], v[194:195], v[128:131]// 0000000075AC: D3D70080 0E038502
	v_mfma_i32_16x16x32_i8 v[128:131], a[4:5], v[196:197], v[128:131]// 0000000075B4: D3D70080 0E038904
	buffer_load_dword v26, s[20:23], 0 offen lds               // 0000000075BC: E0511000 8005001A
	s_add_u32 m0, 0x100, s50                                   // 0000000075C4: 807C32FF 00000100
	v_mfma_i32_16x16x32_i8 v[128:131], a[6:7], v[198:199], v[128:131]// 0000000075CC: D3D70080 0E038D06
	v_mfma_i32_16x16x32_i8 v[128:131], a[8:9], v[200:201], v[128:131]// 0000000075D4: D3D70080 0E039108
	buffer_load_dwordx4 a[132:135], v34, s[24:27], 0 offen offset:1024// 0000000075DC: E05C1400 80868422
	v_mfma_i32_16x16x32_i8 v[128:131], a[10:11], v[202:203], v[128:131]// 0000000075E4: D3D70080 0E03950A
	v_mfma_i32_16x16x32_i8 v[128:131], a[12:13], v[204:205], v[128:131]// 0000000075EC: D3D70080 0E03990C
	buffer_load_dword v27, s[20:23], 0 offen lds               // 0000000075F4: E0511000 8005001B
	s_add_u32 m0, 0x200, s50                                   // 0000000075FC: 807C32FF 00000200
	v_mfma_i32_16x16x32_i8 v[128:131], a[14:15], v[206:207], v[128:131]// 000000007604: D3D70080 0E039D0E
	v_mfma_i32_16x16x32_i8 v[132:135], a[0:1], v[208:209], v[132:135]// 00000000760C: D3D70084 0E13A100
	buffer_load_dwordx4 a[136:139], v34, s[24:27], 0 offen offset:2048// 000000007614: E05C1800 80868822
	v_mfma_i32_16x16x32_i8 v[132:135], a[2:3], v[210:211], v[132:135]// 00000000761C: D3D70084 0E13A502
	v_mfma_i32_16x16x32_i8 v[132:135], a[4:5], v[212:213], v[132:135]// 000000007624: D3D70084 0E13A904
	buffer_load_dword v28, s[20:23], 0 offen lds               // 00000000762C: E0511000 8005001C
	s_add_u32 m0, 0x300, s50                                   // 000000007634: 807C32FF 00000300
	v_mfma_i32_16x16x32_i8 v[132:135], a[6:7], v[214:215], v[132:135]// 00000000763C: D3D70084 0E13AD06
	v_mfma_i32_16x16x32_i8 v[132:135], a[8:9], v[216:217], v[132:135]// 000000007644: D3D70084 0E13B108
	buffer_load_dwordx4 a[140:143], v34, s[24:27], 0 offen offset:3072// 00000000764C: E05C1C00 80868C22
	v_mfma_i32_16x16x32_i8 v[132:135], a[10:11], v[218:219], v[132:135]// 000000007654: D3D70084 0E13B50A
	v_mfma_i32_16x16x32_i8 v[132:135], a[12:13], v[220:221], v[132:135]// 00000000765C: D3D70084 0E13B90C
	buffer_load_dword v29, s[20:23], 0 offen lds               // 000000007664: E0511000 8005001D
	s_add_u32 m0, 0x400, s50                                   // 00000000766C: 807C32FF 00000400
	v_mfma_i32_16x16x32_i8 v[132:135], a[14:15], v[222:223], v[132:135]// 000000007674: D3D70084 0E13BD0E
	v_mfma_i32_16x16x32_i8 v[136:139], a[16:17], v[192:193], v[136:139]// 00000000767C: D3D70088 0E238110
	buffer_load_dwordx4 a[144:147], v35, s[24:27], 0 offen     // 000000007684: E05C1000 80869023
	v_mfma_i32_16x16x32_i8 v[136:139], a[18:19], v[194:195], v[136:139]// 00000000768C: D3D70088 0E238512
	v_mfma_i32_16x16x32_i8 v[136:139], a[20:21], v[196:197], v[136:139]// 000000007694: D3D70088 0E238914
	buffer_load_dword v30, s[20:23], 0 offen lds               // 00000000769C: E0511000 8005001E
	s_add_u32 m0, 0x500, s50                                   // 0000000076A4: 807C32FF 00000500
	v_mfma_i32_16x16x32_i8 v[136:139], a[22:23], v[198:199], v[136:139]// 0000000076AC: D3D70088 0E238D16
	v_mfma_i32_16x16x32_i8 v[136:139], a[24:25], v[200:201], v[136:139]// 0000000076B4: D3D70088 0E239118
	buffer_load_dwordx4 a[148:151], v35, s[24:27], 0 offen offset:1024// 0000000076BC: E05C1400 80869423
	v_mfma_i32_16x16x32_i8 v[136:139], a[26:27], v[202:203], v[136:139]// 0000000076C4: D3D70088 0E23951A
	v_mfma_i32_16x16x32_i8 v[136:139], a[28:29], v[204:205], v[136:139]// 0000000076CC: D3D70088 0E23991C
	buffer_load_dword v31, s[20:23], 0 offen lds               // 0000000076D4: E0511000 8005001F
	s_add_u32 m0, 0x600, s50                                   // 0000000076DC: 807C32FF 00000600
	v_mfma_i32_16x16x32_i8 v[136:139], a[30:31], v[206:207], v[136:139]// 0000000076E4: D3D70088 0E239D1E
	v_mfma_i32_16x16x32_i8 v[140:143], a[16:17], v[208:209], v[140:143]// 0000000076EC: D3D7008C 0E33A110
	buffer_load_dwordx4 a[152:155], v35, s[24:27], 0 offen offset:2048// 0000000076F4: E05C1800 80869823
	v_mfma_i32_16x16x32_i8 v[140:143], a[18:19], v[210:211], v[140:143]// 0000000076FC: D3D7008C 0E33A512
	v_mfma_i32_16x16x32_i8 v[140:143], a[20:21], v[212:213], v[140:143]// 000000007704: D3D7008C 0E33A914
	buffer_load_dword v32, s[20:23], 0 offen lds               // 00000000770C: E0511000 80050020
	s_add_u32 m0, 0x700, s50                                   // 000000007714: 807C32FF 00000700
	v_mfma_i32_16x16x32_i8 v[140:143], a[22:23], v[214:215], v[140:143]// 00000000771C: D3D7008C 0E33AD16
	v_mfma_i32_16x16x32_i8 v[140:143], a[24:25], v[216:217], v[140:143]// 000000007724: D3D7008C 0E33B118
	buffer_load_dwordx4 a[156:159], v35, s[24:27], 0 offen offset:3072// 00000000772C: E05C1C00 80869C23
	v_mfma_i32_16x16x32_i8 v[140:143], a[26:27], v[218:219], v[140:143]// 000000007734: D3D7008C 0E33B51A
	v_mfma_i32_16x16x32_i8 v[140:143], a[28:29], v[220:221], v[140:143]// 00000000773C: D3D7008C 0E33B91C
	buffer_load_dword v33, s[20:23], 0 offen lds               // 000000007744: E0511000 80050021
	s_add_u32 m0, 0, s51                                       // 00000000774C: 807C3380
	v_mfma_i32_16x16x32_i8 v[140:143], a[30:31], v[222:223], v[140:143]// 000000007750: D3D7008C 0E33BD1E
	s_waitcnt vmcnt(32)                                        // 000000007758: BF8C8F70
	v_mfma_i32_16x16x32_i8 v[144:147], a[32:33], v[192:193], v[144:147]// 00000000775C: D3D70090 0E438120
	buffer_load_dwordx4 a[160:163], v36, s[24:27], 0 offen     // 000000007764: E05C1000 8086A024
	v_mfma_i32_16x16x32_i8 v[144:147], a[34:35], v[194:195], v[144:147]// 00000000776C: D3D70090 0E438522
	v_mfma_i32_16x16x32_i8 v[144:147], a[36:37], v[196:197], v[144:147]// 000000007774: D3D70090 0E438924
	ds_read_b128 v[224:227], v2 offset:8320                    // 00000000777C: D9FE2080 E0000002
	v_mfma_i32_16x16x32_i8 v[144:147], a[38:39], v[198:199], v[144:147]// 000000007784: D3D70090 0E438D26
	v_mfma_i32_16x16x32_i8 v[144:147], a[40:41], v[200:201], v[144:147]// 00000000778C: D3D70090 0E439128
	buffer_load_dwordx4 a[164:167], v36, s[24:27], 0 offen offset:1024// 000000007794: E05C1400 8086A424
	v_mfma_i32_16x16x32_i8 v[144:147], a[42:43], v[202:203], v[144:147]// 00000000779C: D3D70090 0E43952A
	v_mfma_i32_16x16x32_i8 v[144:147], a[44:45], v[204:205], v[144:147]// 0000000077A4: D3D70090 0E43992C
	ds_read_b128 v[228:231], v2 offset:8384                    // 0000000077AC: D9FE20C0 E4000002
	v_mfma_i32_16x16x32_i8 v[144:147], a[46:47], v[206:207], v[144:147]// 0000000077B4: D3D70090 0E439D2E
	v_mfma_i32_16x16x32_i8 v[148:151], a[32:33], v[208:209], v[148:151]// 0000000077BC: D3D70094 0E53A120
	buffer_load_dwordx4 a[168:171], v36, s[24:27], 0 offen offset:2048// 0000000077C4: E05C1800 8086A824
	v_mfma_i32_16x16x32_i8 v[148:151], a[34:35], v[210:211], v[148:151]// 0000000077CC: D3D70094 0E53A522
	v_mfma_i32_16x16x32_i8 v[148:151], a[36:37], v[212:213], v[148:151]// 0000000077D4: D3D70094 0E53A924
	ds_read_b128 v[232:235], v2 offset:8448                    // 0000000077DC: D9FE2100 E8000002
	v_mfma_i32_16x16x32_i8 v[148:151], a[38:39], v[214:215], v[148:151]// 0000000077E4: D3D70094 0E53AD26
	v_mfma_i32_16x16x32_i8 v[148:151], a[40:41], v[216:217], v[148:151]// 0000000077EC: D3D70094 0E53B128
	buffer_load_dwordx4 a[172:175], v36, s[24:27], 0 offen offset:3072// 0000000077F4: E05C1C00 8086AC24
	v_mfma_i32_16x16x32_i8 v[148:151], a[42:43], v[218:219], v[148:151]// 0000000077FC: D3D70094 0E53B52A
	v_mfma_i32_16x16x32_i8 v[148:151], a[44:45], v[220:221], v[148:151]// 000000007804: D3D70094 0E53B92C
	ds_read_b128 v[236:239], v2 offset:8512                    // 00000000780C: D9FE2140 EC000002
	v_mfma_i32_16x16x32_i8 v[148:151], a[46:47], v[222:223], v[148:151]// 000000007814: D3D70094 0E53BD2E
	v_mfma_i32_16x16x32_i8 v[152:155], a[48:49], v[192:193], v[152:155]// 00000000781C: D3D70098 0E638130
	buffer_load_dwordx4 a[176:179], v37, s[24:27], 0 offen     // 000000007824: E05C1000 8086B025
	v_mfma_i32_16x16x32_i8 v[152:155], a[50:51], v[194:195], v[152:155]// 00000000782C: D3D70098 0E638532
	v_mfma_i32_16x16x32_i8 v[152:155], a[52:53], v[196:197], v[152:155]// 000000007834: D3D70098 0E638934
	ds_read_b128 v[240:243], v2 offset:9344                    // 00000000783C: D9FE2480 F0000002
	v_mfma_i32_16x16x32_i8 v[152:155], a[54:55], v[198:199], v[152:155]// 000000007844: D3D70098 0E638D36
	v_mfma_i32_16x16x32_i8 v[152:155], a[56:57], v[200:201], v[152:155]// 00000000784C: D3D70098 0E639138
	buffer_load_dwordx4 a[180:183], v37, s[24:27], 0 offen offset:1024// 000000007854: E05C1400 8086B425
	v_mfma_i32_16x16x32_i8 v[152:155], a[58:59], v[202:203], v[152:155]// 00000000785C: D3D70098 0E63953A
	v_mfma_i32_16x16x32_i8 v[152:155], a[60:61], v[204:205], v[152:155]// 000000007864: D3D70098 0E63993C
	ds_read_b128 v[244:247], v2 offset:9408                    // 00000000786C: D9FE24C0 F4000002
	v_mfma_i32_16x16x32_i8 v[152:155], a[62:63], v[206:207], v[152:155]// 000000007874: D3D70098 0E639D3E
	v_mfma_i32_16x16x32_i8 v[156:159], a[48:49], v[208:209], v[156:159]// 00000000787C: D3D7009C 0E73A130
	buffer_load_dwordx4 a[184:187], v37, s[24:27], 0 offen offset:2048// 000000007884: E05C1800 8086B825
	v_mfma_i32_16x16x32_i8 v[156:159], a[50:51], v[210:211], v[156:159]// 00000000788C: D3D7009C 0E73A532
	v_mfma_i32_16x16x32_i8 v[156:159], a[52:53], v[212:213], v[156:159]// 000000007894: D3D7009C 0E73A934
	ds_read_b128 v[248:251], v2 offset:9472                    // 00000000789C: D9FE2500 F8000002
	v_mfma_i32_16x16x32_i8 v[156:159], a[54:55], v[214:215], v[156:159]// 0000000078A4: D3D7009C 0E73AD36
	v_mfma_i32_16x16x32_i8 v[156:159], a[56:57], v[216:217], v[156:159]// 0000000078AC: D3D7009C 0E73B138
	buffer_load_dwordx4 a[188:191], v37, s[24:27], 0 offen offset:3072// 0000000078B4: E05C1C00 8086BC25
	v_mfma_i32_16x16x32_i8 v[156:159], a[58:59], v[218:219], v[156:159]// 0000000078BC: D3D7009C 0E73B53A
	v_mfma_i32_16x16x32_i8 v[156:159], a[60:61], v[220:221], v[156:159]// 0000000078C4: D3D7009C 0E73B93C
	ds_read_b128 v[252:255], v2 offset:9536                    // 0000000078CC: D9FE2540 FC000002
	v_mfma_i32_16x16x32_i8 v[156:159], a[62:63], v[222:223], v[156:159]// 0000000078D4: D3D7009C 0E73BD3E
	s_waitcnt vmcnt(32)                                        // 0000000078DC: BF8C8F70
	v_mfma_i32_16x16x32_i8 v[160:163], a[64:65], v[192:193], v[160:163]// 0000000078E0: D3D700A0 0E838140
	buffer_load_dwordx4 a[192:195], v38, s[24:27], 0 offen     // 0000000078E8: E05C1000 8086C026
	v_mfma_i32_16x16x32_i8 v[160:163], a[66:67], v[194:195], v[160:163]// 0000000078F0: D3D700A0 0E838542
	v_mfma_i32_16x16x32_i8 v[160:163], a[68:69], v[196:197], v[160:163]// 0000000078F8: D3D700A0 0E838944
	s_add_u32 s60, 0x300, s80                                  // 000000007900: 803C50FF 00000300
	s_cmp_lt_u32 s60, s81                                      // 000000007908: BF0A513C
	s_cselect_b32 s57, s57, 0                                  // 00000000790C: 85398039
	v_mfma_i32_16x16x32_i8 v[160:163], a[70:71], v[198:199], v[160:163]// 000000007910: D3D700A0 0E838D46
	v_mfma_i32_16x16x32_i8 v[160:163], a[72:73], v[200:201], v[160:163]// 000000007918: D3D700A0 0E839148
	buffer_load_dwordx4 a[196:199], v38, s[24:27], 0 offen offset:1024// 000000007920: E05C1400 8086C426
	v_mfma_i32_16x16x32_i8 v[160:163], a[74:75], v[202:203], v[160:163]// 000000007928: D3D700A0 0E83954A
	v_mfma_i32_16x16x32_i8 v[160:163], a[76:77], v[204:205], v[160:163]// 000000007930: D3D700A0 0E83994C
	s_add_u32 s60, 0x200, s80                                  // 000000007938: 803C50FF 00000200
	s_cmp_lt_u32 s60, s81                                      // 000000007940: BF0A513C
	s_cselect_b32 s58, s58, 0                                  // 000000007944: 853A803A
	v_mfma_i32_16x16x32_i8 v[160:163], a[78:79], v[206:207], v[160:163]// 000000007948: D3D700A0 0E839D4E
	v_mfma_i32_16x16x32_i8 v[164:167], a[64:65], v[208:209], v[164:167]// 000000007950: D3D700A4 0E93A140
	buffer_load_dwordx4 a[200:203], v38, s[24:27], 0 offen offset:2048// 000000007958: E05C1800 8086C826
	v_mfma_i32_16x16x32_i8 v[164:167], a[66:67], v[210:211], v[164:167]// 000000007960: D3D700A4 0E93A542
	v_mfma_i32_16x16x32_i8 v[164:167], a[68:69], v[212:213], v[164:167]// 000000007968: D3D700A4 0E93A944
	s_add_u32 s20, s57, s20                                    // 000000007970: 80141439
	s_addc_u32 s21, 0, s21                                     // 000000007974: 82151580
	v_mfma_i32_16x16x32_i8 v[164:167], a[70:71], v[214:215], v[164:167]// 000000007978: D3D700A4 0E93AD46
	v_mfma_i32_16x16x32_i8 v[164:167], a[72:73], v[216:217], v[164:167]// 000000007980: D3D700A4 0E93B148
	buffer_load_dwordx4 a[204:207], v38, s[24:27], 0 offen offset:3072// 000000007988: E05C1C00 8086CC26
	v_mfma_i32_16x16x32_i8 v[164:167], a[74:75], v[218:219], v[164:167]// 000000007990: D3D700A4 0E93B54A
	v_mfma_i32_16x16x32_i8 v[164:167], a[76:77], v[220:221], v[164:167]// 000000007998: D3D700A4 0E93B94C
	v_mfma_i32_16x16x32_i8 v[164:167], a[78:79], v[222:223], v[164:167]// 0000000079A0: D3D700A4 0E93BD4E
	v_mfma_i32_16x16x32_i8 v[168:171], a[80:81], v[192:193], v[168:171]// 0000000079A8: D3D700A8 0EA38150
	buffer_load_dwordx4 a[208:211], v39, s[24:27], 0 offen     // 0000000079B0: E05C1000 8086D027
	v_mfma_i32_16x16x32_i8 v[168:171], a[82:83], v[194:195], v[168:171]// 0000000079B8: D3D700A8 0EA38552
	v_mfma_i32_16x16x32_i8 v[168:171], a[84:85], v[196:197], v[168:171]// 0000000079C0: D3D700A8 0EA38954
	v_mfma_i32_16x16x32_i8 v[168:171], a[86:87], v[198:199], v[168:171]// 0000000079C8: D3D700A8 0EA38D56
	v_mfma_i32_16x16x32_i8 v[168:171], a[88:89], v[200:201], v[168:171]// 0000000079D0: D3D700A8 0EA39158
	buffer_load_dwordx4 a[212:215], v39, s[24:27], 0 offen offset:1024// 0000000079D8: E05C1400 8086D427
	v_mfma_i32_16x16x32_i8 v[168:171], a[90:91], v[202:203], v[168:171]// 0000000079E0: D3D700A8 0EA3955A
	v_mfma_i32_16x16x32_i8 v[168:171], a[92:93], v[204:205], v[168:171]// 0000000079E8: D3D700A8 0EA3995C
	v_mfma_i32_16x16x32_i8 v[168:171], a[94:95], v[206:207], v[168:171]// 0000000079F0: D3D700A8 0EA39D5E
	v_mfma_i32_16x16x32_i8 v[172:175], a[80:81], v[208:209], v[172:175]// 0000000079F8: D3D700AC 0EB3A150
	buffer_load_dwordx4 a[216:219], v39, s[24:27], 0 offen offset:2048// 000000007A00: E05C1800 8086D827
	v_mfma_i32_16x16x32_i8 v[172:175], a[82:83], v[210:211], v[172:175]// 000000007A08: D3D700AC 0EB3A552
	v_mfma_i32_16x16x32_i8 v[172:175], a[84:85], v[212:213], v[172:175]// 000000007A10: D3D700AC 0EB3A954
	v_mfma_i32_16x16x32_i8 v[172:175], a[86:87], v[214:215], v[172:175]// 000000007A18: D3D700AC 0EB3AD56
	v_mfma_i32_16x16x32_i8 v[172:175], a[88:89], v[216:217], v[172:175]// 000000007A20: D3D700AC 0EB3B158
	buffer_load_dwordx4 a[220:223], v39, s[24:27], 0 offen offset:3072// 000000007A28: E05C1C00 8086DC27
	v_mfma_i32_16x16x32_i8 v[172:175], a[90:91], v[218:219], v[172:175]// 000000007A30: D3D700AC 0EB3B55A
	v_mfma_i32_16x16x32_i8 v[172:175], a[92:93], v[220:221], v[172:175]// 000000007A38: D3D700AC 0EB3B95C
	v_mfma_i32_16x16x32_i8 v[172:175], a[94:95], v[222:223], v[172:175]// 000000007A40: D3D700AC 0EB3BD5E
	s_waitcnt vmcnt(32)                                        // 000000007A48: BF8C8F70
	v_mfma_i32_16x16x32_i8 v[176:179], a[96:97], v[192:193], v[176:179]// 000000007A4C: D3D700B0 0EC38160
	buffer_load_dwordx4 a[224:227], v40, s[24:27], 0 offen     // 000000007A54: E05C1000 8086E028
	v_mfma_i32_16x16x32_i8 v[176:179], a[98:99], v[194:195], v[176:179]// 000000007A5C: D3D700B0 0EC38562
	v_mfma_i32_16x16x32_i8 v[176:179], a[100:101], v[196:197], v[176:179]// 000000007A64: D3D700B0 0EC38964
	v_mfma_i32_16x16x32_i8 v[176:179], a[102:103], v[198:199], v[176:179]// 000000007A6C: D3D700B0 0EC38D66
	v_mfma_i32_16x16x32_i8 v[176:179], a[104:105], v[200:201], v[176:179]// 000000007A74: D3D700B0 0EC39168
	buffer_load_dwordx4 a[228:231], v40, s[24:27], 0 offen offset:1024// 000000007A7C: E05C1400 8086E428
	v_mfma_i32_16x16x32_i8 v[176:179], a[106:107], v[202:203], v[176:179]// 000000007A84: D3D700B0 0EC3956A
	v_mfma_i32_16x16x32_i8 v[176:179], a[108:109], v[204:205], v[176:179]// 000000007A8C: D3D700B0 0EC3996C
	v_mfma_i32_16x16x32_i8 v[176:179], a[110:111], v[206:207], v[176:179]// 000000007A94: D3D700B0 0EC39D6E
	v_mfma_i32_16x16x32_i8 v[180:183], a[96:97], v[208:209], v[180:183]// 000000007A9C: D3D700B4 0ED3A160
	buffer_load_dwordx4 a[232:235], v40, s[24:27], 0 offen offset:2048// 000000007AA4: E05C1800 8086E828
	v_mfma_i32_16x16x32_i8 v[180:183], a[98:99], v[210:211], v[180:183]// 000000007AAC: D3D700B4 0ED3A562
	v_mfma_i32_16x16x32_i8 v[180:183], a[100:101], v[212:213], v[180:183]// 000000007AB4: D3D700B4 0ED3A964
	v_mfma_i32_16x16x32_i8 v[180:183], a[102:103], v[214:215], v[180:183]// 000000007ABC: D3D700B4 0ED3AD66
	v_mfma_i32_16x16x32_i8 v[180:183], a[104:105], v[216:217], v[180:183]// 000000007AC4: D3D700B4 0ED3B168
	buffer_load_dwordx4 a[236:239], v40, s[24:27], 0 offen offset:3072// 000000007ACC: E05C1C00 8086EC28
	v_mfma_i32_16x16x32_i8 v[180:183], a[106:107], v[218:219], v[180:183]// 000000007AD4: D3D700B4 0ED3B56A
	v_mfma_i32_16x16x32_i8 v[180:183], a[108:109], v[220:221], v[180:183]// 000000007ADC: D3D700B4 0ED3B96C
	v_mfma_i32_16x16x32_i8 v[180:183], a[110:111], v[222:223], v[180:183]// 000000007AE4: D3D700B4 0ED3BD6E
	v_mfma_i32_16x16x32_i8 v[184:187], a[112:113], v[192:193], v[184:187]// 000000007AEC: D3D700B8 0EE38170
	buffer_load_dwordx4 a[240:243], v41, s[24:27], 0 offen     // 000000007AF4: E05C1000 8086F029
	v_mfma_i32_16x16x32_i8 v[184:187], a[114:115], v[194:195], v[184:187]// 000000007AFC: D3D700B8 0EE38572
	v_mfma_i32_16x16x32_i8 v[184:187], a[116:117], v[196:197], v[184:187]// 000000007B04: D3D700B8 0EE38974
	v_mfma_i32_16x16x32_i8 v[184:187], a[118:119], v[198:199], v[184:187]// 000000007B0C: D3D700B8 0EE38D76
	v_mfma_i32_16x16x32_i8 v[184:187], a[120:121], v[200:201], v[184:187]// 000000007B14: D3D700B8 0EE39178
	buffer_load_dwordx4 a[244:247], v41, s[24:27], 0 offen offset:1024// 000000007B1C: E05C1400 8086F429
	v_mfma_i32_16x16x32_i8 v[184:187], a[122:123], v[202:203], v[184:187]// 000000007B24: D3D700B8 0EE3957A
	v_mfma_i32_16x16x32_i8 v[184:187], a[124:125], v[204:205], v[184:187]// 000000007B2C: D3D700B8 0EE3997C
	v_mfma_i32_16x16x32_i8 v[184:187], a[126:127], v[206:207], v[184:187]// 000000007B34: D3D700B8 0EE39D7E
	v_mfma_i32_16x16x32_i8 v[188:191], a[112:113], v[208:209], v[188:191]// 000000007B3C: D3D700BC 0EF3A170
	buffer_load_dwordx4 a[248:251], v41, s[24:27], 0 offen offset:2048// 000000007B44: E05C1800 8086F829
	v_mfma_i32_16x16x32_i8 v[188:191], a[114:115], v[210:211], v[188:191]// 000000007B4C: D3D700BC 0EF3A572
	v_mfma_i32_16x16x32_i8 v[188:191], a[116:117], v[212:213], v[188:191]// 000000007B54: D3D700BC 0EF3A974
	v_mfma_i32_16x16x32_i8 v[188:191], a[118:119], v[214:215], v[188:191]// 000000007B5C: D3D700BC 0EF3AD76
	v_mfma_i32_16x16x32_i8 v[188:191], a[120:121], v[216:217], v[188:191]// 000000007B64: D3D700BC 0EF3B178
	buffer_load_dwordx4 a[252:255], v41, s[24:27], 0 offen offset:3072// 000000007B6C: E05C1C00 8086FC29
	v_mfma_i32_16x16x32_i8 v[188:191], a[122:123], v[218:219], v[188:191]// 000000007B74: D3D700BC 0EF3B57A
	v_mfma_i32_16x16x32_i8 v[188:191], a[124:125], v[220:221], v[188:191]// 000000007B7C: D3D700BC 0EF3B97C
	s_add_u32 s24, s58, s24                                    // 000000007B84: 8018183A
	s_addc_u32 s25, 0, s25                                     // 000000007B88: 82191980
	v_mfma_i32_16x16x32_i8 v[188:191], a[126:127], v[222:223], v[188:191]// 000000007B8C: D3D700BC 0EF3BD7E
	s_addk_i32 s80, 0x100                                      // 000000007B94: B7500100
	s_cmp_lt_i32 s80, s81                                      // 000000007B98: BF045150
	s_cbranch_scc0 label_15AC                                  // 000000007B9C: BF840184
	s_waitcnt vmcnt(24) lgkmcnt(0)                             // 000000007BA0: BF8C4078
	s_barrier                                                  // 000000007BA4: BF8A0000
	v_mfma_i32_16x16x32_i8 v[128:131], a[128:129], v[224:225], v[128:131]// 000000007BA8: D3D70080 0E03C180
	buffer_load_dwordx4 a[0:3], v34, s[24:27], 0 offen         // 000000007BB0: E05C1000 80860022
	v_mfma_i32_16x16x32_i8 v[128:131], a[130:131], v[226:227], v[128:131]// 000000007BB8: D3D70080 0E03C582
	v_mfma_i32_16x16x32_i8 v[128:131], a[132:133], v[228:229], v[128:131]// 000000007BC0: D3D70080 0E03C984
	buffer_load_dword v26, s[20:23], 0 offen lds               // 000000007BC8: E0511000 8005001A
	s_add_u32 m0, 0x100, s51                                   // 000000007BD0: 807C33FF 00000100
	v_mfma_i32_16x16x32_i8 v[128:131], a[134:135], v[230:231], v[128:131]// 000000007BD8: D3D70080 0E03CD86
	v_mfma_i32_16x16x32_i8 v[128:131], a[136:137], v[232:233], v[128:131]// 000000007BE0: D3D70080 0E03D188
	buffer_load_dwordx4 a[4:7], v34, s[24:27], 0 offen offset:1024// 000000007BE8: E05C1400 80860422
	v_mfma_i32_16x16x32_i8 v[128:131], a[138:139], v[234:235], v[128:131]// 000000007BF0: D3D70080 0E03D58A
	v_mfma_i32_16x16x32_i8 v[128:131], a[140:141], v[236:237], v[128:131]// 000000007BF8: D3D70080 0E03D98C
	buffer_load_dword v27, s[20:23], 0 offen lds               // 000000007C00: E0511000 8005001B
	s_add_u32 m0, 0x200, s51                                   // 000000007C08: 807C33FF 00000200
	v_mfma_i32_16x16x32_i8 v[128:131], a[142:143], v[238:239], v[128:131]// 000000007C10: D3D70080 0E03DD8E
	v_mfma_i32_16x16x32_i8 v[132:135], a[128:129], v[240:241], v[132:135]// 000000007C18: D3D70084 0E13E180
	buffer_load_dwordx4 a[8:11], v34, s[24:27], 0 offen offset:2048// 000000007C20: E05C1800 80860822
	v_mfma_i32_16x16x32_i8 v[132:135], a[130:131], v[242:243], v[132:135]// 000000007C28: D3D70084 0E13E582
	v_mfma_i32_16x16x32_i8 v[132:135], a[132:133], v[244:245], v[132:135]// 000000007C30: D3D70084 0E13E984
	buffer_load_dword v28, s[20:23], 0 offen lds               // 000000007C38: E0511000 8005001C
	s_add_u32 m0, 0x300, s51                                   // 000000007C40: 807C33FF 00000300
	v_mfma_i32_16x16x32_i8 v[132:135], a[134:135], v[246:247], v[132:135]// 000000007C48: D3D70084 0E13ED86
	v_mfma_i32_16x16x32_i8 v[132:135], a[136:137], v[248:249], v[132:135]// 000000007C50: D3D70084 0E13F188
	buffer_load_dwordx4 a[12:15], v34, s[24:27], 0 offen offset:3072// 000000007C58: E05C1C00 80860C22
	v_mfma_i32_16x16x32_i8 v[132:135], a[138:139], v[250:251], v[132:135]// 000000007C60: D3D70084 0E13F58A
	v_mfma_i32_16x16x32_i8 v[132:135], a[140:141], v[252:253], v[132:135]// 000000007C68: D3D70084 0E13F98C
	buffer_load_dword v29, s[20:23], 0 offen lds               // 000000007C70: E0511000 8005001D
	s_add_u32 m0, 0x400, s51                                   // 000000007C78: 807C33FF 00000400
	v_mfma_i32_16x16x32_i8 v[132:135], a[142:143], v[254:255], v[132:135]// 000000007C80: D3D70084 0E13FD8E
	v_mfma_i32_16x16x32_i8 v[136:139], a[144:145], v[224:225], v[136:139]// 000000007C88: D3D70088 0E23C190
	buffer_load_dwordx4 a[16:19], v35, s[24:27], 0 offen       // 000000007C90: E05C1000 80861023
	v_mfma_i32_16x16x32_i8 v[136:139], a[146:147], v[226:227], v[136:139]// 000000007C98: D3D70088 0E23C592
	v_mfma_i32_16x16x32_i8 v[136:139], a[148:149], v[228:229], v[136:139]// 000000007CA0: D3D70088 0E23C994
	buffer_load_dword v30, s[20:23], 0 offen lds               // 000000007CA8: E0511000 8005001E
	s_add_u32 m0, 0x500, s51                                   // 000000007CB0: 807C33FF 00000500
	v_mfma_i32_16x16x32_i8 v[136:139], a[150:151], v[230:231], v[136:139]// 000000007CB8: D3D70088 0E23CD96
	v_mfma_i32_16x16x32_i8 v[136:139], a[152:153], v[232:233], v[136:139]// 000000007CC0: D3D70088 0E23D198
	buffer_load_dwordx4 a[20:23], v35, s[24:27], 0 offen offset:1024// 000000007CC8: E05C1400 80861423
	v_mfma_i32_16x16x32_i8 v[136:139], a[154:155], v[234:235], v[136:139]// 000000007CD0: D3D70088 0E23D59A
	v_mfma_i32_16x16x32_i8 v[136:139], a[156:157], v[236:237], v[136:139]// 000000007CD8: D3D70088 0E23D99C
	buffer_load_dword v31, s[20:23], 0 offen lds               // 000000007CE0: E0511000 8005001F
	s_add_u32 m0, 0x600, s51                                   // 000000007CE8: 807C33FF 00000600
	v_mfma_i32_16x16x32_i8 v[136:139], a[158:159], v[238:239], v[136:139]// 000000007CF0: D3D70088 0E23DD9E
	v_mfma_i32_16x16x32_i8 v[140:143], a[144:145], v[240:241], v[140:143]// 000000007CF8: D3D7008C 0E33E190
	buffer_load_dwordx4 a[24:27], v35, s[24:27], 0 offen offset:2048// 000000007D00: E05C1800 80861823
	v_mfma_i32_16x16x32_i8 v[140:143], a[146:147], v[242:243], v[140:143]// 000000007D08: D3D7008C 0E33E592
	v_mfma_i32_16x16x32_i8 v[140:143], a[148:149], v[244:245], v[140:143]// 000000007D10: D3D7008C 0E33E994
	buffer_load_dword v32, s[20:23], 0 offen lds               // 000000007D18: E0511000 80050020
	s_add_u32 m0, 0x700, s51                                   // 000000007D20: 807C33FF 00000700
	v_mfma_i32_16x16x32_i8 v[140:143], a[150:151], v[246:247], v[140:143]// 000000007D28: D3D7008C 0E33ED96
	v_mfma_i32_16x16x32_i8 v[140:143], a[152:153], v[248:249], v[140:143]// 000000007D30: D3D7008C 0E33F198
	buffer_load_dwordx4 a[28:31], v35, s[24:27], 0 offen offset:3072// 000000007D38: E05C1C00 80861C23
	v_mfma_i32_16x16x32_i8 v[140:143], a[154:155], v[250:251], v[140:143]// 000000007D40: D3D7008C 0E33F59A
	v_mfma_i32_16x16x32_i8 v[140:143], a[156:157], v[252:253], v[140:143]// 000000007D48: D3D7008C 0E33F99C
	buffer_load_dword v33, s[20:23], 0 offen lds               // 000000007D50: E0511000 80050021
	s_add_u32 m0, 0, s50                                       // 000000007D58: 807C3280
	v_mfma_i32_16x16x32_i8 v[140:143], a[158:159], v[254:255], v[140:143]// 000000007D5C: D3D7008C 0E33FD9E
	s_waitcnt vmcnt(32)                                        // 000000007D64: BF8C8F70
	v_mfma_i32_16x16x32_i8 v[144:147], a[160:161], v[224:225], v[144:147]// 000000007D68: D3D70090 0E43C1A0
	buffer_load_dwordx4 a[32:35], v36, s[24:27], 0 offen       // 000000007D70: E05C1000 80862024
	v_mfma_i32_16x16x32_i8 v[144:147], a[162:163], v[226:227], v[144:147]// 000000007D78: D3D70090 0E43C5A2
	v_mfma_i32_16x16x32_i8 v[144:147], a[164:165], v[228:229], v[144:147]// 000000007D80: D3D70090 0E43C9A4
	ds_read_b128 v[192:195], v2                                // 000000007D88: D9FE0000 C0000002
	v_mfma_i32_16x16x32_i8 v[144:147], a[166:167], v[230:231], v[144:147]// 000000007D90: D3D70090 0E43CDA6
	v_mfma_i32_16x16x32_i8 v[144:147], a[168:169], v[232:233], v[144:147]// 000000007D98: D3D70090 0E43D1A8
	buffer_load_dwordx4 a[36:39], v36, s[24:27], 0 offen offset:1024// 000000007DA0: E05C1400 80862424
	v_mfma_i32_16x16x32_i8 v[144:147], a[170:171], v[234:235], v[144:147]// 000000007DA8: D3D70090 0E43D5AA
	v_mfma_i32_16x16x32_i8 v[144:147], a[172:173], v[236:237], v[144:147]// 000000007DB0: D3D70090 0E43D9AC
	ds_read_b128 v[196:199], v2 offset:64                      // 000000007DB8: D9FE0040 C4000002
	v_mfma_i32_16x16x32_i8 v[144:147], a[174:175], v[238:239], v[144:147]// 000000007DC0: D3D70090 0E43DDAE
	v_mfma_i32_16x16x32_i8 v[148:151], a[160:161], v[240:241], v[148:151]// 000000007DC8: D3D70094 0E53E1A0
	buffer_load_dwordx4 a[40:43], v36, s[24:27], 0 offen offset:2048// 000000007DD0: E05C1800 80862824
	v_mfma_i32_16x16x32_i8 v[148:151], a[162:163], v[242:243], v[148:151]// 000000007DD8: D3D70094 0E53E5A2
	v_mfma_i32_16x16x32_i8 v[148:151], a[164:165], v[244:245], v[148:151]// 000000007DE0: D3D70094 0E53E9A4
	ds_read_b128 v[200:203], v2 offset:128                     // 000000007DE8: D9FE0080 C8000002
	v_mfma_i32_16x16x32_i8 v[148:151], a[166:167], v[246:247], v[148:151]// 000000007DF0: D3D70094 0E53EDA6
	v_mfma_i32_16x16x32_i8 v[148:151], a[168:169], v[248:249], v[148:151]// 000000007DF8: D3D70094 0E53F1A8
	buffer_load_dwordx4 a[44:47], v36, s[24:27], 0 offen offset:3072// 000000007E00: E05C1C00 80862C24
	v_mfma_i32_16x16x32_i8 v[148:151], a[170:171], v[250:251], v[148:151]// 000000007E08: D3D70094 0E53F5AA
	v_mfma_i32_16x16x32_i8 v[148:151], a[172:173], v[252:253], v[148:151]// 000000007E10: D3D70094 0E53F9AC
	ds_read_b128 v[204:207], v2 offset:192                     // 000000007E18: D9FE00C0 CC000002
	v_mfma_i32_16x16x32_i8 v[148:151], a[174:175], v[254:255], v[148:151]// 000000007E20: D3D70094 0E53FDAE
	v_mfma_i32_16x16x32_i8 v[152:155], a[176:177], v[224:225], v[152:155]// 000000007E28: D3D70098 0E63C1B0
	buffer_load_dwordx4 a[48:51], v37, s[24:27], 0 offen       // 000000007E30: E05C1000 80863025
	v_mfma_i32_16x16x32_i8 v[152:155], a[178:179], v[226:227], v[152:155]// 000000007E38: D3D70098 0E63C5B2
	v_mfma_i32_16x16x32_i8 v[152:155], a[180:181], v[228:229], v[152:155]// 000000007E40: D3D70098 0E63C9B4
	ds_read_b128 v[208:211], v2 offset:1024                    // 000000007E48: D9FE0400 D0000002
	v_mfma_i32_16x16x32_i8 v[152:155], a[182:183], v[230:231], v[152:155]// 000000007E50: D3D70098 0E63CDB6
	v_mfma_i32_16x16x32_i8 v[152:155], a[184:185], v[232:233], v[152:155]// 000000007E58: D3D70098 0E63D1B8
	buffer_load_dwordx4 a[52:55], v37, s[24:27], 0 offen offset:1024// 000000007E60: E05C1400 80863425
	v_mfma_i32_16x16x32_i8 v[152:155], a[186:187], v[234:235], v[152:155]// 000000007E68: D3D70098 0E63D5BA
	v_mfma_i32_16x16x32_i8 v[152:155], a[188:189], v[236:237], v[152:155]// 000000007E70: D3D70098 0E63D9BC
	ds_read_b128 v[212:215], v2 offset:1088                    // 000000007E78: D9FE0440 D4000002
	v_mfma_i32_16x16x32_i8 v[152:155], a[190:191], v[238:239], v[152:155]// 000000007E80: D3D70098 0E63DDBE
	v_mfma_i32_16x16x32_i8 v[156:159], a[176:177], v[240:241], v[156:159]// 000000007E88: D3D7009C 0E73E1B0
	buffer_load_dwordx4 a[56:59], v37, s[24:27], 0 offen offset:2048// 000000007E90: E05C1800 80863825
	v_mfma_i32_16x16x32_i8 v[156:159], a[178:179], v[242:243], v[156:159]// 000000007E98: D3D7009C 0E73E5B2
	v_mfma_i32_16x16x32_i8 v[156:159], a[180:181], v[244:245], v[156:159]// 000000007EA0: D3D7009C 0E73E9B4
	ds_read_b128 v[216:219], v2 offset:1152                    // 000000007EA8: D9FE0480 D8000002
	v_mfma_i32_16x16x32_i8 v[156:159], a[182:183], v[246:247], v[156:159]// 000000007EB0: D3D7009C 0E73EDB6
	v_mfma_i32_16x16x32_i8 v[156:159], a[184:185], v[248:249], v[156:159]// 000000007EB8: D3D7009C 0E73F1B8
	buffer_load_dwordx4 a[60:63], v37, s[24:27], 0 offen offset:3072// 000000007EC0: E05C1C00 80863C25
	v_mfma_i32_16x16x32_i8 v[156:159], a[186:187], v[250:251], v[156:159]// 000000007EC8: D3D7009C 0E73F5BA
	v_mfma_i32_16x16x32_i8 v[156:159], a[188:189], v[252:253], v[156:159]// 000000007ED0: D3D7009C 0E73F9BC
	ds_read_b128 v[220:223], v2 offset:1216                    // 000000007ED8: D9FE04C0 DC000002
	v_mfma_i32_16x16x32_i8 v[156:159], a[190:191], v[254:255], v[156:159]// 000000007EE0: D3D7009C 0E73FDBE
	s_waitcnt vmcnt(32)                                        // 000000007EE8: BF8C8F70
	v_mfma_i32_16x16x32_i8 v[160:163], a[192:193], v[224:225], v[160:163]// 000000007EEC: D3D700A0 0E83C1C0
	buffer_load_dwordx4 a[64:67], v38, s[24:27], 0 offen       // 000000007EF4: E05C1000 80864026
	v_mfma_i32_16x16x32_i8 v[160:163], a[194:195], v[226:227], v[160:163]// 000000007EFC: D3D700A0 0E83C5C2
	v_mfma_i32_16x16x32_i8 v[160:163], a[196:197], v[228:229], v[160:163]// 000000007F04: D3D700A0 0E83C9C4
	s_add_u32 s60, 0x300, s80                                  // 000000007F0C: 803C50FF 00000300
	s_cmp_lt_u32 s60, s81                                      // 000000007F14: BF0A513C
	s_cselect_b32 s57, s57, 0                                  // 000000007F18: 85398039
	v_mfma_i32_16x16x32_i8 v[160:163], a[198:199], v[230:231], v[160:163]// 000000007F1C: D3D700A0 0E83CDC6
	v_mfma_i32_16x16x32_i8 v[160:163], a[200:201], v[232:233], v[160:163]// 000000007F24: D3D700A0 0E83D1C8
	buffer_load_dwordx4 a[68:71], v38, s[24:27], 0 offen offset:1024// 000000007F2C: E05C1400 80864426
	v_mfma_i32_16x16x32_i8 v[160:163], a[202:203], v[234:235], v[160:163]// 000000007F34: D3D700A0 0E83D5CA
	v_mfma_i32_16x16x32_i8 v[160:163], a[204:205], v[236:237], v[160:163]// 000000007F3C: D3D700A0 0E83D9CC
	s_add_u32 s60, 0x200, s80                                  // 000000007F44: 803C50FF 00000200
	s_cmp_lt_u32 s60, s81                                      // 000000007F4C: BF0A513C
	s_cselect_b32 s58, s58, 0                                  // 000000007F50: 853A803A
	v_mfma_i32_16x16x32_i8 v[160:163], a[206:207], v[238:239], v[160:163]// 000000007F54: D3D700A0 0E83DDCE
	v_mfma_i32_16x16x32_i8 v[164:167], a[192:193], v[240:241], v[164:167]// 000000007F5C: D3D700A4 0E93E1C0
	buffer_load_dwordx4 a[72:75], v38, s[24:27], 0 offen offset:2048// 000000007F64: E05C1800 80864826
	v_mfma_i32_16x16x32_i8 v[164:167], a[194:195], v[242:243], v[164:167]// 000000007F6C: D3D700A4 0E93E5C2
	v_mfma_i32_16x16x32_i8 v[164:167], a[196:197], v[244:245], v[164:167]// 000000007F74: D3D700A4 0E93E9C4
	s_add_u32 s20, s57, s20                                    // 000000007F7C: 80141439
	s_addc_u32 s21, 0, s21                                     // 000000007F80: 82151580
	v_mfma_i32_16x16x32_i8 v[164:167], a[198:199], v[246:247], v[164:167]// 000000007F84: D3D700A4 0E93EDC6
	v_mfma_i32_16x16x32_i8 v[164:167], a[200:201], v[248:249], v[164:167]// 000000007F8C: D3D700A4 0E93F1C8
	buffer_load_dwordx4 a[76:79], v38, s[24:27], 0 offen offset:3072// 000000007F94: E05C1C00 80864C26
	v_mfma_i32_16x16x32_i8 v[164:167], a[202:203], v[250:251], v[164:167]// 000000007F9C: D3D700A4 0E93F5CA
	v_mfma_i32_16x16x32_i8 v[164:167], a[204:205], v[252:253], v[164:167]// 000000007FA4: D3D700A4 0E93F9CC
	v_mfma_i32_16x16x32_i8 v[164:167], a[206:207], v[254:255], v[164:167]// 000000007FAC: D3D700A4 0E93FDCE
	v_mfma_i32_16x16x32_i8 v[168:171], a[208:209], v[224:225], v[168:171]// 000000007FB4: D3D700A8 0EA3C1D0
	buffer_load_dwordx4 a[80:83], v39, s[24:27], 0 offen       // 000000007FBC: E05C1000 80865027
	v_mfma_i32_16x16x32_i8 v[168:171], a[210:211], v[226:227], v[168:171]// 000000007FC4: D3D700A8 0EA3C5D2
	v_mfma_i32_16x16x32_i8 v[168:171], a[212:213], v[228:229], v[168:171]// 000000007FCC: D3D700A8 0EA3C9D4
	v_mfma_i32_16x16x32_i8 v[168:171], a[214:215], v[230:231], v[168:171]// 000000007FD4: D3D700A8 0EA3CDD6
	v_mfma_i32_16x16x32_i8 v[168:171], a[216:217], v[232:233], v[168:171]// 000000007FDC: D3D700A8 0EA3D1D8
	buffer_load_dwordx4 a[84:87], v39, s[24:27], 0 offen offset:1024// 000000007FE4: E05C1400 80865427
	v_mfma_i32_16x16x32_i8 v[168:171], a[218:219], v[234:235], v[168:171]// 000000007FEC: D3D700A8 0EA3D5DA
	v_mfma_i32_16x16x32_i8 v[168:171], a[220:221], v[236:237], v[168:171]// 000000007FF4: D3D700A8 0EA3D9DC
	v_mfma_i32_16x16x32_i8 v[168:171], a[222:223], v[238:239], v[168:171]// 000000007FFC: D3D700A8 0EA3DDDE
	v_mfma_i32_16x16x32_i8 v[172:175], a[208:209], v[240:241], v[172:175]// 000000008004: D3D700AC 0EB3E1D0
	buffer_load_dwordx4 a[88:91], v39, s[24:27], 0 offen offset:2048// 00000000800C: E05C1800 80865827
	v_mfma_i32_16x16x32_i8 v[172:175], a[210:211], v[242:243], v[172:175]// 000000008014: D3D700AC 0EB3E5D2
	v_mfma_i32_16x16x32_i8 v[172:175], a[212:213], v[244:245], v[172:175]// 00000000801C: D3D700AC 0EB3E9D4
	v_mfma_i32_16x16x32_i8 v[172:175], a[214:215], v[246:247], v[172:175]// 000000008024: D3D700AC 0EB3EDD6
	v_mfma_i32_16x16x32_i8 v[172:175], a[216:217], v[248:249], v[172:175]// 00000000802C: D3D700AC 0EB3F1D8
	buffer_load_dwordx4 a[92:95], v39, s[24:27], 0 offen offset:3072// 000000008034: E05C1C00 80865C27
	v_mfma_i32_16x16x32_i8 v[172:175], a[218:219], v[250:251], v[172:175]// 00000000803C: D3D700AC 0EB3F5DA
	v_mfma_i32_16x16x32_i8 v[172:175], a[220:221], v[252:253], v[172:175]// 000000008044: D3D700AC 0EB3F9DC
	v_mfma_i32_16x16x32_i8 v[172:175], a[222:223], v[254:255], v[172:175]// 00000000804C: D3D700AC 0EB3FDDE
	s_waitcnt vmcnt(32)                                        // 000000008054: BF8C8F70
	v_mfma_i32_16x16x32_i8 v[176:179], a[224:225], v[224:225], v[176:179]// 000000008058: D3D700B0 0EC3C1E0
	buffer_load_dwordx4 a[96:99], v40, s[24:27], 0 offen       // 000000008060: E05C1000 80866028
	v_mfma_i32_16x16x32_i8 v[176:179], a[226:227], v[226:227], v[176:179]// 000000008068: D3D700B0 0EC3C5E2
	v_mfma_i32_16x16x32_i8 v[176:179], a[228:229], v[228:229], v[176:179]// 000000008070: D3D700B0 0EC3C9E4
	v_mfma_i32_16x16x32_i8 v[176:179], a[230:231], v[230:231], v[176:179]// 000000008078: D3D700B0 0EC3CDE6
	v_mfma_i32_16x16x32_i8 v[176:179], a[232:233], v[232:233], v[176:179]// 000000008080: D3D700B0 0EC3D1E8
	buffer_load_dwordx4 a[100:103], v40, s[24:27], 0 offen offset:1024// 000000008088: E05C1400 80866428
	v_mfma_i32_16x16x32_i8 v[176:179], a[234:235], v[234:235], v[176:179]// 000000008090: D3D700B0 0EC3D5EA
	v_mfma_i32_16x16x32_i8 v[176:179], a[236:237], v[236:237], v[176:179]// 000000008098: D3D700B0 0EC3D9EC
	v_mfma_i32_16x16x32_i8 v[176:179], a[238:239], v[238:239], v[176:179]// 0000000080A0: D3D700B0 0EC3DDEE
	v_mfma_i32_16x16x32_i8 v[180:183], a[224:225], v[240:241], v[180:183]// 0000000080A8: D3D700B4 0ED3E1E0
	buffer_load_dwordx4 a[104:107], v40, s[24:27], 0 offen offset:2048// 0000000080B0: E05C1800 80866828
	v_mfma_i32_16x16x32_i8 v[180:183], a[226:227], v[242:243], v[180:183]// 0000000080B8: D3D700B4 0ED3E5E2
	v_mfma_i32_16x16x32_i8 v[180:183], a[228:229], v[244:245], v[180:183]// 0000000080C0: D3D700B4 0ED3E9E4
	v_mfma_i32_16x16x32_i8 v[180:183], a[230:231], v[246:247], v[180:183]// 0000000080C8: D3D700B4 0ED3EDE6
	v_mfma_i32_16x16x32_i8 v[180:183], a[232:233], v[248:249], v[180:183]// 0000000080D0: D3D700B4 0ED3F1E8
	buffer_load_dwordx4 a[108:111], v40, s[24:27], 0 offen offset:3072// 0000000080D8: E05C1C00 80866C28
	v_mfma_i32_16x16x32_i8 v[180:183], a[234:235], v[250:251], v[180:183]// 0000000080E0: D3D700B4 0ED3F5EA
	v_mfma_i32_16x16x32_i8 v[180:183], a[236:237], v[252:253], v[180:183]// 0000000080E8: D3D700B4 0ED3F9EC
	v_mfma_i32_16x16x32_i8 v[180:183], a[238:239], v[254:255], v[180:183]// 0000000080F0: D3D700B4 0ED3FDEE
	v_mfma_i32_16x16x32_i8 v[184:187], a[240:241], v[224:225], v[184:187]// 0000000080F8: D3D700B8 0EE3C1F0
	buffer_load_dwordx4 a[112:115], v41, s[24:27], 0 offen     // 000000008100: E05C1000 80867029
	v_mfma_i32_16x16x32_i8 v[184:187], a[242:243], v[226:227], v[184:187]// 000000008108: D3D700B8 0EE3C5F2
	v_mfma_i32_16x16x32_i8 v[184:187], a[244:245], v[228:229], v[184:187]// 000000008110: D3D700B8 0EE3C9F4
	v_mfma_i32_16x16x32_i8 v[184:187], a[246:247], v[230:231], v[184:187]// 000000008118: D3D700B8 0EE3CDF6
	v_mfma_i32_16x16x32_i8 v[184:187], a[248:249], v[232:233], v[184:187]// 000000008120: D3D700B8 0EE3D1F8
	buffer_load_dwordx4 a[116:119], v41, s[24:27], 0 offen offset:1024// 000000008128: E05C1400 80867429
	v_mfma_i32_16x16x32_i8 v[184:187], a[250:251], v[234:235], v[184:187]// 000000008130: D3D700B8 0EE3D5FA
	v_mfma_i32_16x16x32_i8 v[184:187], a[252:253], v[236:237], v[184:187]// 000000008138: D3D700B8 0EE3D9FC
	v_mfma_i32_16x16x32_i8 v[184:187], a[254:255], v[238:239], v[184:187]// 000000008140: D3D700B8 0EE3DDFE
	v_mfma_i32_16x16x32_i8 v[188:191], a[240:241], v[240:241], v[188:191]// 000000008148: D3D700BC 0EF3E1F0
	buffer_load_dwordx4 a[120:123], v41, s[24:27], 0 offen offset:2048// 000000008150: E05C1800 80867829
	v_mfma_i32_16x16x32_i8 v[188:191], a[242:243], v[242:243], v[188:191]// 000000008158: D3D700BC 0EF3E5F2
	v_mfma_i32_16x16x32_i8 v[188:191], a[244:245], v[244:245], v[188:191]// 000000008160: D3D700BC 0EF3E9F4
	v_mfma_i32_16x16x32_i8 v[188:191], a[246:247], v[246:247], v[188:191]// 000000008168: D3D700BC 0EF3EDF6
	v_mfma_i32_16x16x32_i8 v[188:191], a[248:249], v[248:249], v[188:191]// 000000008170: D3D700BC 0EF3F1F8
	buffer_load_dwordx4 a[124:127], v41, s[24:27], 0 offen offset:3072// 000000008178: E05C1C00 80867C29
	v_mfma_i32_16x16x32_i8 v[188:191], a[250:251], v[250:251], v[188:191]// 000000008180: D3D700BC 0EF3F5FA
	v_mfma_i32_16x16x32_i8 v[188:191], a[252:253], v[252:253], v[188:191]// 000000008188: D3D700BC 0EF3F9FC
	s_add_u32 s24, s58, s24                                    // 000000008190: 8018183A
	s_addc_u32 s25, 0, s25                                     // 000000008194: 82191980
	v_mfma_i32_16x16x32_i8 v[188:191], a[254:255], v[254:255], v[188:191]// 000000008198: D3D700BC 0EF3FDFE
	s_addk_i32 s80, 0x100                                      // 0000000081A0: B7500100
	s_cmp_lt_i32 s80, s81                                      // 0000000081A4: BF045150
	s_cbranch_scc0 label_15AC                                  // 0000000081A8: BF840001
	s_branch label_12A5                                        // 0000000081AC: BF82FCF9

00000000000081b0 <label_15AC>:
	s_mov_b32 s20, 0                                           // 0000000081B0: BE940080
	s_cmp_lt_u32 s91, s66                                      // 0000000081B4: BF0A425B
	s_cselect_b32 s60, 0, 1                                    // 0000000081B8: 853C8180
	s_lshl1_add_u32 s20, s20, s60                              // 0000000081BC: 97143C14
	s_cmp_lt_u32 s90, s66                                      // 0000000081C0: BF0A425A
	s_cselect_b32 s60, 0, 1                                    // 0000000081C4: 853C8180
	s_lshl1_add_u32 s20, s20, s60                              // 0000000081C8: 97143C14
	s_cmp_lt_u32 s89, s66                                      // 0000000081CC: BF0A4259
	s_cselect_b32 s60, 0, 1                                    // 0000000081D0: 853C8180
	s_lshl1_add_u32 s20, s20, s60                              // 0000000081D4: 97143C14
	s_cmp_lt_u32 s88, s66                                      // 0000000081D8: BF0A4258
	s_cselect_b32 s60, 0, 1                                    // 0000000081DC: 853C8180
	s_lshl1_add_u32 s20, s20, s60                              // 0000000081E0: 97143C14
	s_cmp_lt_u32 s87, s66                                      // 0000000081E4: BF0A4257
	s_cselect_b32 s60, 0, 1                                    // 0000000081E8: 853C8180
	s_lshl1_add_u32 s20, s20, s60                              // 0000000081EC: 97143C14
	s_cmp_lt_u32 s86, s66                                      // 0000000081F0: BF0A4256
	s_cselect_b32 s60, 0, 1                                    // 0000000081F4: 853C8180
	s_lshl1_add_u32 s20, s20, s60                              // 0000000081F8: 97143C14
	s_cmp_lt_u32 s85, s66                                      // 0000000081FC: BF0A4255
	s_cselect_b32 s60, 0, 1                                    // 000000008200: 853C8180
	s_lshl1_add_u32 s20, s20, s60                              // 000000008204: 97143C14
	s_cmp_lt_u32 s84, s66                                      // 000000008208: BF0A4254
	s_cselect_b32 s60, 0, 1                                    // 00000000820C: 853C8180
	s_lshl1_add_u32 s20, s20, s60                              // 000000008210: 97143C14
	v_cvt_f32_i32_e32 v128, v128                               // 000000008214: 7F000B80
	v_cvt_f32_i32_e32 v129, v129                               // 000000008218: 7F020B81
	v_cvt_f32_i32_e32 v130, v130                               // 00000000821C: 7F040B82
	v_cvt_f32_i32_e32 v131, v131                               // 000000008220: 7F060B83
	v_mul_f32_e32 v128, v14, v128                              // 000000008224: 0B01010E
	v_mul_f32_e32 v129, v14, v129                              // 000000008228: 0B03030E
	v_mul_f32_e32 v130, v14, v130                              // 00000000822C: 0B05050E
	v_mul_f32_e32 v131, v14, v131                              // 000000008230: 0B07070E
	v_mul_f32_dpp v128, v16, v128 row_newbcast:0 row_mask:0xf bank_mask:0xf// 000000008234: 0B0100FA FF015010
	v_mul_f32_dpp v129, v16, v129 row_newbcast:1 row_mask:0xf bank_mask:0xf// 00000000823C: 0B0302FA FF015110
	v_mul_f32_dpp v130, v16, v130 row_newbcast:2 row_mask:0xf bank_mask:0xf// 000000008244: 0B0504FA FF015210
	v_mul_f32_dpp v131, v16, v131 row_newbcast:3 row_mask:0xf bank_mask:0xf// 00000000824C: 0B0706FA FF015310
	v_cvt_f32_i32_e32 v132, v132                               // 000000008254: 7F080B84
	v_cvt_f32_i32_e32 v133, v133                               // 000000008258: 7F0A0B85
	v_cvt_f32_i32_e32 v134, v134                               // 00000000825C: 7F0C0B86
	v_cvt_f32_i32_e32 v135, v135                               // 000000008260: 7F0E0B87
	v_mul_f32_e32 v132, v15, v132                              // 000000008264: 0B09090F
	v_mul_f32_e32 v133, v15, v133                              // 000000008268: 0B0B0B0F
	v_mul_f32_e32 v134, v15, v134                              // 00000000826C: 0B0D0D0F
	v_mul_f32_e32 v135, v15, v135                              // 000000008270: 0B0F0F0F
	v_mul_f32_dpp v132, v16, v132 row_newbcast:0 row_mask:0xf bank_mask:0xf// 000000008274: 0B0908FA FF015010
	v_mul_f32_dpp v133, v16, v133 row_newbcast:1 row_mask:0xf bank_mask:0xf// 00000000827C: 0B0B0AFA FF015110
	v_mul_f32_dpp v134, v16, v134 row_newbcast:2 row_mask:0xf bank_mask:0xf// 000000008284: 0B0D0CFA FF015210
	v_mul_f32_dpp v135, v16, v135 row_newbcast:3 row_mask:0xf bank_mask:0xf// 00000000828C: 0B0F0EFA FF015310
	v_cvt_f32_i32_e32 v136, v136                               // 000000008294: 7F100B88
	v_cvt_f32_i32_e32 v137, v137                               // 000000008298: 7F120B89
	v_cvt_f32_i32_e32 v138, v138                               // 00000000829C: 7F140B8A
	v_cvt_f32_i32_e32 v139, v139                               // 0000000082A0: 7F160B8B
	v_mul_f32_e32 v136, v14, v136                              // 0000000082A4: 0B11110E
	v_mul_f32_e32 v137, v14, v137                              // 0000000082A8: 0B13130E
	v_mul_f32_e32 v138, v14, v138                              // 0000000082AC: 0B15150E
	v_mul_f32_e32 v139, v14, v139                              // 0000000082B0: 0B17170E
	v_mul_f32_dpp v136, v16, v136 row_newbcast:4 row_mask:0xf bank_mask:0xf// 0000000082B4: 0B1110FA FF015410
	v_mul_f32_dpp v137, v16, v137 row_newbcast:5 row_mask:0xf bank_mask:0xf// 0000000082BC: 0B1312FA FF015510
	v_mul_f32_dpp v138, v16, v138 row_newbcast:6 row_mask:0xf bank_mask:0xf// 0000000082C4: 0B1514FA FF015610
	v_mul_f32_dpp v139, v16, v139 row_newbcast:7 row_mask:0xf bank_mask:0xf// 0000000082CC: 0B1716FA FF015710
	v_cvt_f32_i32_e32 v140, v140                               // 0000000082D4: 7F180B8C
	v_cvt_f32_i32_e32 v141, v141                               // 0000000082D8: 7F1A0B8D
	v_cvt_f32_i32_e32 v142, v142                               // 0000000082DC: 7F1C0B8E
	v_cvt_f32_i32_e32 v143, v143                               // 0000000082E0: 7F1E0B8F
	v_mul_f32_e32 v140, v15, v140                              // 0000000082E4: 0B19190F
	v_mul_f32_e32 v141, v15, v141                              // 0000000082E8: 0B1B1B0F
	v_mul_f32_e32 v142, v15, v142                              // 0000000082EC: 0B1D1D0F
	v_mul_f32_e32 v143, v15, v143                              // 0000000082F0: 0B1F1F0F
	v_mul_f32_dpp v140, v16, v140 row_newbcast:4 row_mask:0xf bank_mask:0xf// 0000000082F4: 0B1918FA FF015410
	v_mul_f32_dpp v141, v16, v141 row_newbcast:5 row_mask:0xf bank_mask:0xf// 0000000082FC: 0B1B1AFA FF015510
	v_mul_f32_dpp v142, v16, v142 row_newbcast:6 row_mask:0xf bank_mask:0xf// 000000008304: 0B1D1CFA FF015610
	v_mul_f32_dpp v143, v16, v143 row_newbcast:7 row_mask:0xf bank_mask:0xf// 00000000830C: 0B1F1EFA FF015710
	v_cvt_f32_i32_e32 v144, v144                               // 000000008314: 7F200B90
	v_cvt_f32_i32_e32 v145, v145                               // 000000008318: 7F220B91
	v_cvt_f32_i32_e32 v146, v146                               // 00000000831C: 7F240B92
	v_cvt_f32_i32_e32 v147, v147                               // 000000008320: 7F260B93
	v_mul_f32_e32 v144, v14, v144                              // 000000008324: 0B21210E
	v_mul_f32_e32 v145, v14, v145                              // 000000008328: 0B23230E
	v_mul_f32_e32 v146, v14, v146                              // 00000000832C: 0B25250E
	v_mul_f32_e32 v147, v14, v147                              // 000000008330: 0B27270E
	v_mul_f32_dpp v144, v16, v144 row_newbcast:8 row_mask:0xf bank_mask:0xf// 000000008334: 0B2120FA FF015810
	v_mul_f32_dpp v145, v16, v145 row_newbcast:9 row_mask:0xf bank_mask:0xf// 00000000833C: 0B2322FA FF015910
	v_mul_f32_dpp v146, v16, v146 row_newbcast:10 row_mask:0xf bank_mask:0xf// 000000008344: 0B2524FA FF015A10
	v_mul_f32_dpp v147, v16, v147 row_newbcast:11 row_mask:0xf bank_mask:0xf// 00000000834C: 0B2726FA FF015B10
	v_cvt_f32_i32_e32 v148, v148                               // 000000008354: 7F280B94
	v_cvt_f32_i32_e32 v149, v149                               // 000000008358: 7F2A0B95
	v_cvt_f32_i32_e32 v150, v150                               // 00000000835C: 7F2C0B96
	v_cvt_f32_i32_e32 v151, v151                               // 000000008360: 7F2E0B97
	v_mul_f32_e32 v148, v15, v148                              // 000000008364: 0B29290F
	v_mul_f32_e32 v149, v15, v149                              // 000000008368: 0B2B2B0F
	v_mul_f32_e32 v150, v15, v150                              // 00000000836C: 0B2D2D0F
	v_mul_f32_e32 v151, v15, v151                              // 000000008370: 0B2F2F0F
	v_mul_f32_dpp v148, v16, v148 row_newbcast:8 row_mask:0xf bank_mask:0xf// 000000008374: 0B2928FA FF015810
	v_mul_f32_dpp v149, v16, v149 row_newbcast:9 row_mask:0xf bank_mask:0xf// 00000000837C: 0B2B2AFA FF015910
	v_mul_f32_dpp v150, v16, v150 row_newbcast:10 row_mask:0xf bank_mask:0xf// 000000008384: 0B2D2CFA FF015A10
	v_mul_f32_dpp v151, v16, v151 row_newbcast:11 row_mask:0xf bank_mask:0xf// 00000000838C: 0B2F2EFA FF015B10
	v_cvt_f32_i32_e32 v152, v152                               // 000000008394: 7F300B98
	v_cvt_f32_i32_e32 v153, v153                               // 000000008398: 7F320B99
	v_cvt_f32_i32_e32 v154, v154                               // 00000000839C: 7F340B9A
	v_cvt_f32_i32_e32 v155, v155                               // 0000000083A0: 7F360B9B
	v_mul_f32_e32 v152, v14, v152                              // 0000000083A4: 0B31310E
	v_mul_f32_e32 v153, v14, v153                              // 0000000083A8: 0B33330E
	v_mul_f32_e32 v154, v14, v154                              // 0000000083AC: 0B35350E
	v_mul_f32_e32 v155, v14, v155                              // 0000000083B0: 0B37370E
	v_mul_f32_dpp v152, v16, v152 row_newbcast:12 row_mask:0xf bank_mask:0xf// 0000000083B4: 0B3130FA FF015C10
	v_mul_f32_dpp v153, v16, v153 row_newbcast:13 row_mask:0xf bank_mask:0xf// 0000000083BC: 0B3332FA FF015D10
	v_mul_f32_dpp v154, v16, v154 row_newbcast:14 row_mask:0xf bank_mask:0xf// 0000000083C4: 0B3534FA FF015E10
	v_mul_f32_dpp v155, v16, v155 row_newbcast:15 row_mask:0xf bank_mask:0xf// 0000000083CC: 0B3736FA FF015F10
	v_cvt_f32_i32_e32 v156, v156                               // 0000000083D4: 7F380B9C
	v_cvt_f32_i32_e32 v157, v157                               // 0000000083D8: 7F3A0B9D
	v_cvt_f32_i32_e32 v158, v158                               // 0000000083DC: 7F3C0B9E
	v_cvt_f32_i32_e32 v159, v159                               // 0000000083E0: 7F3E0B9F
	v_mul_f32_e32 v156, v15, v156                              // 0000000083E4: 0B39390F
	v_mul_f32_e32 v157, v15, v157                              // 0000000083E8: 0B3B3B0F
	v_mul_f32_e32 v158, v15, v158                              // 0000000083EC: 0B3D3D0F
	v_mul_f32_e32 v159, v15, v159                              // 0000000083F0: 0B3F3F0F
	v_mul_f32_dpp v156, v16, v156 row_newbcast:12 row_mask:0xf bank_mask:0xf// 0000000083F4: 0B3938FA FF015C10
	v_mul_f32_dpp v157, v16, v157 row_newbcast:13 row_mask:0xf bank_mask:0xf// 0000000083FC: 0B3B3AFA FF015D10
	v_mul_f32_dpp v158, v16, v158 row_newbcast:14 row_mask:0xf bank_mask:0xf// 000000008404: 0B3D3CFA FF015E10
	v_mul_f32_dpp v159, v16, v159 row_newbcast:15 row_mask:0xf bank_mask:0xf// 00000000840C: 0B3F3EFA FF015F10
	v_cvt_f32_i32_e32 v160, v160                               // 000000008414: 7F400BA0
	v_cvt_f32_i32_e32 v161, v161                               // 000000008418: 7F420BA1
	v_cvt_f32_i32_e32 v162, v162                               // 00000000841C: 7F440BA2
	v_cvt_f32_i32_e32 v163, v163                               // 000000008420: 7F460BA3
	v_mul_f32_e32 v160, v14, v160                              // 000000008424: 0B41410E
	v_mul_f32_e32 v161, v14, v161                              // 000000008428: 0B43430E
	v_mul_f32_e32 v162, v14, v162                              // 00000000842C: 0B45450E
	v_mul_f32_e32 v163, v14, v163                              // 000000008430: 0B47470E
	v_mul_f32_dpp v160, v17, v160 row_newbcast:0 row_mask:0xf bank_mask:0xf// 000000008434: 0B4140FA FF015011
	v_mul_f32_dpp v161, v17, v161 row_newbcast:1 row_mask:0xf bank_mask:0xf// 00000000843C: 0B4342FA FF015111
	v_mul_f32_dpp v162, v17, v162 row_newbcast:2 row_mask:0xf bank_mask:0xf// 000000008444: 0B4544FA FF015211
	v_mul_f32_dpp v163, v17, v163 row_newbcast:3 row_mask:0xf bank_mask:0xf// 00000000844C: 0B4746FA FF015311
	v_cvt_f32_i32_e32 v164, v164                               // 000000008454: 7F480BA4
	v_cvt_f32_i32_e32 v165, v165                               // 000000008458: 7F4A0BA5
	v_cvt_f32_i32_e32 v166, v166                               // 00000000845C: 7F4C0BA6
	v_cvt_f32_i32_e32 v167, v167                               // 000000008460: 7F4E0BA7
	v_mul_f32_e32 v164, v15, v164                              // 000000008464: 0B49490F
	v_mul_f32_e32 v165, v15, v165                              // 000000008468: 0B4B4B0F
	v_mul_f32_e32 v166, v15, v166                              // 00000000846C: 0B4D4D0F
	v_mul_f32_e32 v167, v15, v167                              // 000000008470: 0B4F4F0F
	v_mul_f32_dpp v164, v17, v164 row_newbcast:0 row_mask:0xf bank_mask:0xf// 000000008474: 0B4948FA FF015011
	v_mul_f32_dpp v165, v17, v165 row_newbcast:1 row_mask:0xf bank_mask:0xf// 00000000847C: 0B4B4AFA FF015111
	v_mul_f32_dpp v166, v17, v166 row_newbcast:2 row_mask:0xf bank_mask:0xf// 000000008484: 0B4D4CFA FF015211
	v_mul_f32_dpp v167, v17, v167 row_newbcast:3 row_mask:0xf bank_mask:0xf// 00000000848C: 0B4F4EFA FF015311
	v_cvt_f32_i32_e32 v168, v168                               // 000000008494: 7F500BA8
	v_cvt_f32_i32_e32 v169, v169                               // 000000008498: 7F520BA9
	v_cvt_f32_i32_e32 v170, v170                               // 00000000849C: 7F540BAA
	v_cvt_f32_i32_e32 v171, v171                               // 0000000084A0: 7F560BAB
	v_mul_f32_e32 v168, v14, v168                              // 0000000084A4: 0B51510E
	v_mul_f32_e32 v169, v14, v169                              // 0000000084A8: 0B53530E
	v_mul_f32_e32 v170, v14, v170                              // 0000000084AC: 0B55550E
	v_mul_f32_e32 v171, v14, v171                              // 0000000084B0: 0B57570E
	v_mul_f32_dpp v168, v17, v168 row_newbcast:4 row_mask:0xf bank_mask:0xf// 0000000084B4: 0B5150FA FF015411
	v_mul_f32_dpp v169, v17, v169 row_newbcast:5 row_mask:0xf bank_mask:0xf// 0000000084BC: 0B5352FA FF015511
	v_mul_f32_dpp v170, v17, v170 row_newbcast:6 row_mask:0xf bank_mask:0xf// 0000000084C4: 0B5554FA FF015611
	v_mul_f32_dpp v171, v17, v171 row_newbcast:7 row_mask:0xf bank_mask:0xf// 0000000084CC: 0B5756FA FF015711
	v_cvt_f32_i32_e32 v172, v172                               // 0000000084D4: 7F580BAC
	v_cvt_f32_i32_e32 v173, v173                               // 0000000084D8: 7F5A0BAD
	v_cvt_f32_i32_e32 v174, v174                               // 0000000084DC: 7F5C0BAE
	v_cvt_f32_i32_e32 v175, v175                               // 0000000084E0: 7F5E0BAF
	v_mul_f32_e32 v172, v15, v172                              // 0000000084E4: 0B59590F
	v_mul_f32_e32 v173, v15, v173                              // 0000000084E8: 0B5B5B0F
	v_mul_f32_e32 v174, v15, v174                              // 0000000084EC: 0B5D5D0F
	v_mul_f32_e32 v175, v15, v175                              // 0000000084F0: 0B5F5F0F
	v_mul_f32_dpp v172, v17, v172 row_newbcast:4 row_mask:0xf bank_mask:0xf// 0000000084F4: 0B5958FA FF015411
	v_mul_f32_dpp v173, v17, v173 row_newbcast:5 row_mask:0xf bank_mask:0xf// 0000000084FC: 0B5B5AFA FF015511
	v_mul_f32_dpp v174, v17, v174 row_newbcast:6 row_mask:0xf bank_mask:0xf// 000000008504: 0B5D5CFA FF015611
	v_mul_f32_dpp v175, v17, v175 row_newbcast:7 row_mask:0xf bank_mask:0xf// 00000000850C: 0B5F5EFA FF015711
	v_cvt_f32_i32_e32 v176, v176                               // 000000008514: 7F600BB0
	v_cvt_f32_i32_e32 v177, v177                               // 000000008518: 7F620BB1
	v_cvt_f32_i32_e32 v178, v178                               // 00000000851C: 7F640BB2
	v_cvt_f32_i32_e32 v179, v179                               // 000000008520: 7F660BB3
	v_mul_f32_e32 v176, v14, v176                              // 000000008524: 0B61610E
	v_mul_f32_e32 v177, v14, v177                              // 000000008528: 0B63630E
	v_mul_f32_e32 v178, v14, v178                              // 00000000852C: 0B65650E
	v_mul_f32_e32 v179, v14, v179                              // 000000008530: 0B67670E
	v_mul_f32_dpp v176, v17, v176 row_newbcast:8 row_mask:0xf bank_mask:0xf// 000000008534: 0B6160FA FF015811
	v_mul_f32_dpp v177, v17, v177 row_newbcast:9 row_mask:0xf bank_mask:0xf// 00000000853C: 0B6362FA FF015911
	v_mul_f32_dpp v178, v17, v178 row_newbcast:10 row_mask:0xf bank_mask:0xf// 000000008544: 0B6564FA FF015A11
	v_mul_f32_dpp v179, v17, v179 row_newbcast:11 row_mask:0xf bank_mask:0xf// 00000000854C: 0B6766FA FF015B11
	v_cvt_f32_i32_e32 v180, v180                               // 000000008554: 7F680BB4
	v_cvt_f32_i32_e32 v181, v181                               // 000000008558: 7F6A0BB5
	v_cvt_f32_i32_e32 v182, v182                               // 00000000855C: 7F6C0BB6
	v_cvt_f32_i32_e32 v183, v183                               // 000000008560: 7F6E0BB7
	v_mul_f32_e32 v180, v15, v180                              // 000000008564: 0B69690F
	v_mul_f32_e32 v181, v15, v181                              // 000000008568: 0B6B6B0F
	v_mul_f32_e32 v182, v15, v182                              // 00000000856C: 0B6D6D0F
	v_mul_f32_e32 v183, v15, v183                              // 000000008570: 0B6F6F0F
	v_mul_f32_dpp v180, v17, v180 row_newbcast:8 row_mask:0xf bank_mask:0xf// 000000008574: 0B6968FA FF015811
	v_mul_f32_dpp v181, v17, v181 row_newbcast:9 row_mask:0xf bank_mask:0xf// 00000000857C: 0B6B6AFA FF015911
	v_mul_f32_dpp v182, v17, v182 row_newbcast:10 row_mask:0xf bank_mask:0xf// 000000008584: 0B6D6CFA FF015A11
	v_mul_f32_dpp v183, v17, v183 row_newbcast:11 row_mask:0xf bank_mask:0xf// 00000000858C: 0B6F6EFA FF015B11
	v_cvt_f32_i32_e32 v184, v184                               // 000000008594: 7F700BB8
	v_cvt_f32_i32_e32 v185, v185                               // 000000008598: 7F720BB9
	v_cvt_f32_i32_e32 v186, v186                               // 00000000859C: 7F740BBA
	v_cvt_f32_i32_e32 v187, v187                               // 0000000085A0: 7F760BBB
	v_mul_f32_e32 v184, v14, v184                              // 0000000085A4: 0B71710E
	v_mul_f32_e32 v185, v14, v185                              // 0000000085A8: 0B73730E
	v_mul_f32_e32 v186, v14, v186                              // 0000000085AC: 0B75750E
	v_mul_f32_e32 v187, v14, v187                              // 0000000085B0: 0B77770E
	v_mul_f32_dpp v184, v17, v184 row_newbcast:12 row_mask:0xf bank_mask:0xf// 0000000085B4: 0B7170FA FF015C11
	v_mul_f32_dpp v185, v17, v185 row_newbcast:13 row_mask:0xf bank_mask:0xf// 0000000085BC: 0B7372FA FF015D11
	v_mul_f32_dpp v186, v17, v186 row_newbcast:14 row_mask:0xf bank_mask:0xf// 0000000085C4: 0B7574FA FF015E11
	v_mul_f32_dpp v187, v17, v187 row_newbcast:15 row_mask:0xf bank_mask:0xf// 0000000085CC: 0B7776FA FF015F11
	v_cvt_f32_i32_e32 v188, v188                               // 0000000085D4: 7F780BBC
	v_cvt_f32_i32_e32 v189, v189                               // 0000000085D8: 7F7A0BBD
	v_cvt_f32_i32_e32 v190, v190                               // 0000000085DC: 7F7C0BBE
	v_cvt_f32_i32_e32 v191, v191                               // 0000000085E0: 7F7E0BBF
	v_mul_f32_e32 v188, v15, v188                              // 0000000085E4: 0B79790F
	v_mul_f32_e32 v189, v15, v189                              // 0000000085E8: 0B7B7B0F
	v_mul_f32_e32 v190, v15, v190                              // 0000000085EC: 0B7D7D0F
	v_mul_f32_e32 v191, v15, v191                              // 0000000085F0: 0B7F7F0F
	v_mul_f32_dpp v188, v17, v188 row_newbcast:12 row_mask:0xf bank_mask:0xf// 0000000085F4: 0B7978FA FF015C11
	v_mul_f32_dpp v189, v17, v189 row_newbcast:13 row_mask:0xf bank_mask:0xf// 0000000085FC: 0B7B7AFA FF015D11
	v_mul_f32_dpp v190, v17, v190 row_newbcast:14 row_mask:0xf bank_mask:0xf// 000000008604: 0B7D7CFA FF015E11
	v_mul_f32_dpp v191, v17, v191 row_newbcast:15 row_mask:0xf bank_mask:0xf// 00000000860C: 0B7F7EFA FF015F11
	s_waitcnt vmcnt(24)                                        // 000000008614: BF8C4F78
	buffer_load_dwordx4 a[0:3], v42, s[12:15], 0 offen         // 000000008618: E05C1000 8083002A
	v_pk_mul_f32 v[54:55], v[128:129], v[128:129]              // 000000008620: D3B14036 18030180
	v_pk_mul_f32 v[56:57], v[130:131], v[130:131]              // 000000008628: D3B14038 18030582
	v_pk_fma_f32 v[54:55], v[54:55], s[82:83], v[58:59]        // 000000008630: D3B04036 1CE8A536
	v_pk_fma_f32 v[56:57], v[56:57], s[82:83], v[58:59]        // 000000008638: D3B04038 1CE8A538
	v_pk_mul_f32 v[54:55], v[54:55], v[128:129]                // 000000008640: D3B14036 18030136
	v_pk_mul_f32 v[56:57], v[56:57], v[130:131]                // 000000008648: D3B14038 18030538
	v_pk_mul_f32 v[54:55], v[54:55], s[6:7]                    // 000000008650: D3B14036 18000D36
	v_pk_mul_f32 v[56:57], v[56:57], s[6:7]                    // 000000008658: D3B14038 18000D38
	v_exp_f32_e32 v54, v54                                     // 000000008660: 7E6C4136
	v_exp_f32_e32 v55, v55                                     // 000000008664: 7E6E4137
	v_exp_f32_e32 v56, v56                                     // 000000008668: 7E704138
	v_exp_f32_e32 v57, v57                                     // 00000000866C: 7E724139
	buffer_load_dwordx4 a[4:7], v42, s[12:15], 0 offen offset:1024// 000000008670: E05C1400 8083042A
	v_add_f32_e64 v54, v54, 1.0                                // 000000008678: D1010036 0001E536
	v_add_f32_e64 v55, v55, 1.0                                // 000000008680: D1010037 0001E537
	v_add_f32_e64 v56, v56, 1.0                                // 000000008688: D1010038 0001E538
	v_add_f32_e64 v57, v57, 1.0                                // 000000008690: D1010039 0001E539
	v_rcp_f32_e32 v54, v54                                     // 000000008698: 7E6C4536
	v_rcp_f32_e32 v55, v55                                     // 00000000869C: 7E6E4537
	v_rcp_f32_e32 v56, v56                                     // 0000000086A0: 7E704538
	v_rcp_f32_e32 v57, v57                                     // 0000000086A4: 7E724539
	v_pk_mul_f32 v[128:129], v[128:129], v[54:55]              // 0000000086A8: D3B14080 18026D80
	v_pk_mul_f32 v[130:131], v[130:131], v[56:57]              // 0000000086B0: D3B14082 18027182
	buffer_load_dwordx4 a[8:11], v42, s[12:15], 0 offen offset:2048// 0000000086B8: E05C1800 8083082A
	v_pk_mul_f32 v[54:55], v[132:133], v[132:133]              // 0000000086C0: D3B14036 18030984
	v_pk_mul_f32 v[56:57], v[134:135], v[134:135]              // 0000000086C8: D3B14038 18030D86
	v_pk_fma_f32 v[54:55], v[54:55], s[82:83], v[58:59]        // 0000000086D0: D3B04036 1CE8A536
	v_pk_fma_f32 v[56:57], v[56:57], s[82:83], v[58:59]        // 0000000086D8: D3B04038 1CE8A538
	v_pk_mul_f32 v[54:55], v[54:55], v[132:133]                // 0000000086E0: D3B14036 18030936
	v_pk_mul_f32 v[56:57], v[56:57], v[134:135]                // 0000000086E8: D3B14038 18030D38
	v_pk_mul_f32 v[54:55], v[54:55], s[6:7]                    // 0000000086F0: D3B14036 18000D36
	v_pk_mul_f32 v[56:57], v[56:57], s[6:7]                    // 0000000086F8: D3B14038 18000D38
	v_exp_f32_e32 v54, v54                                     // 000000008700: 7E6C4136
	v_exp_f32_e32 v55, v55                                     // 000000008704: 7E6E4137
	v_exp_f32_e32 v56, v56                                     // 000000008708: 7E704138
	v_exp_f32_e32 v57, v57                                     // 00000000870C: 7E724139
	buffer_load_dwordx4 a[12:15], v42, s[12:15], 0 offen offset:3072// 000000008710: E05C1C00 80830C2A
	v_add_f32_e64 v54, v54, 1.0                                // 000000008718: D1010036 0001E536
	v_add_f32_e64 v55, v55, 1.0                                // 000000008720: D1010037 0001E537
	v_add_f32_e64 v56, v56, 1.0                                // 000000008728: D1010038 0001E538
	v_add_f32_e64 v57, v57, 1.0                                // 000000008730: D1010039 0001E539
	v_rcp_f32_e32 v54, v54                                     // 000000008738: 7E6C4536
	v_rcp_f32_e32 v55, v55                                     // 00000000873C: 7E6E4537
	v_rcp_f32_e32 v56, v56                                     // 000000008740: 7E704538
	v_rcp_f32_e32 v57, v57                                     // 000000008744: 7E724539
	v_pk_mul_f32 v[132:133], v[132:133], v[54:55]              // 000000008748: D3B14084 18026D84
	v_pk_mul_f32 v[134:135], v[134:135], v[56:57]              // 000000008750: D3B14086 18027186
	buffer_load_dwordx4 a[16:19], v43, s[12:15], 0 offen       // 000000008758: E05C1000 8083102B
	v_pk_mul_f32 v[54:55], v[136:137], v[136:137]              // 000000008760: D3B14036 18031188
	v_pk_mul_f32 v[56:57], v[138:139], v[138:139]              // 000000008768: D3B14038 1803158A
	v_pk_fma_f32 v[54:55], v[54:55], s[82:83], v[58:59]        // 000000008770: D3B04036 1CE8A536
	v_pk_fma_f32 v[56:57], v[56:57], s[82:83], v[58:59]        // 000000008778: D3B04038 1CE8A538
	v_pk_mul_f32 v[54:55], v[54:55], v[136:137]                // 000000008780: D3B14036 18031136
	v_pk_mul_f32 v[56:57], v[56:57], v[138:139]                // 000000008788: D3B14038 18031538
	v_pk_mul_f32 v[54:55], v[54:55], s[6:7]                    // 000000008790: D3B14036 18000D36
	v_pk_mul_f32 v[56:57], v[56:57], s[6:7]                    // 000000008798: D3B14038 18000D38
	v_exp_f32_e32 v54, v54                                     // 0000000087A0: 7E6C4136
	v_exp_f32_e32 v55, v55                                     // 0000000087A4: 7E6E4137
	v_exp_f32_e32 v56, v56                                     // 0000000087A8: 7E704138
	v_exp_f32_e32 v57, v57                                     // 0000000087AC: 7E724139
	buffer_load_dwordx4 a[20:23], v43, s[12:15], 0 offen offset:1024// 0000000087B0: E05C1400 8083142B
	v_add_f32_e64 v54, v54, 1.0                                // 0000000087B8: D1010036 0001E536
	v_add_f32_e64 v55, v55, 1.0                                // 0000000087C0: D1010037 0001E537
	v_add_f32_e64 v56, v56, 1.0                                // 0000000087C8: D1010038 0001E538
	v_add_f32_e64 v57, v57, 1.0                                // 0000000087D0: D1010039 0001E539
	v_rcp_f32_e32 v54, v54                                     // 0000000087D8: 7E6C4536
	v_rcp_f32_e32 v55, v55                                     // 0000000087DC: 7E6E4537
	v_rcp_f32_e32 v56, v56                                     // 0000000087E0: 7E704538
	v_rcp_f32_e32 v57, v57                                     // 0000000087E4: 7E724539
	v_pk_mul_f32 v[136:137], v[136:137], v[54:55]              // 0000000087E8: D3B14088 18026D88
	v_pk_mul_f32 v[138:139], v[138:139], v[56:57]              // 0000000087F0: D3B1408A 1802718A
	buffer_load_dwordx4 a[24:27], v43, s[12:15], 0 offen offset:2048// 0000000087F8: E05C1800 8083182B
	v_pk_mul_f32 v[54:55], v[140:141], v[140:141]              // 000000008800: D3B14036 1803198C
	v_pk_mul_f32 v[56:57], v[142:143], v[142:143]              // 000000008808: D3B14038 18031D8E
	v_pk_fma_f32 v[54:55], v[54:55], s[82:83], v[58:59]        // 000000008810: D3B04036 1CE8A536
	v_pk_fma_f32 v[56:57], v[56:57], s[82:83], v[58:59]        // 000000008818: D3B04038 1CE8A538
	v_pk_mul_f32 v[54:55], v[54:55], v[140:141]                // 000000008820: D3B14036 18031936
	v_pk_mul_f32 v[56:57], v[56:57], v[142:143]                // 000000008828: D3B14038 18031D38
	v_pk_mul_f32 v[54:55], v[54:55], s[6:7]                    // 000000008830: D3B14036 18000D36
	v_pk_mul_f32 v[56:57], v[56:57], s[6:7]                    // 000000008838: D3B14038 18000D38
	v_exp_f32_e32 v54, v54                                     // 000000008840: 7E6C4136
	v_exp_f32_e32 v55, v55                                     // 000000008844: 7E6E4137
	v_exp_f32_e32 v56, v56                                     // 000000008848: 7E704138
	v_exp_f32_e32 v57, v57                                     // 00000000884C: 7E724139
	buffer_load_dwordx4 a[28:31], v43, s[12:15], 0 offen offset:3072// 000000008850: E05C1C00 80831C2B
	v_add_f32_e64 v54, v54, 1.0                                // 000000008858: D1010036 0001E536
	v_add_f32_e64 v55, v55, 1.0                                // 000000008860: D1010037 0001E537
	v_add_f32_e64 v56, v56, 1.0                                // 000000008868: D1010038 0001E538
	v_add_f32_e64 v57, v57, 1.0                                // 000000008870: D1010039 0001E539
	v_rcp_f32_e32 v54, v54                                     // 000000008878: 7E6C4536
	v_rcp_f32_e32 v55, v55                                     // 00000000887C: 7E6E4537
	v_rcp_f32_e32 v56, v56                                     // 000000008880: 7E704538
	v_rcp_f32_e32 v57, v57                                     // 000000008884: 7E724539
	v_pk_mul_f32 v[140:141], v[140:141], v[54:55]              // 000000008888: D3B1408C 18026D8C
	v_pk_mul_f32 v[142:143], v[142:143], v[56:57]              // 000000008890: D3B1408E 1802718E
	s_waitcnt vmcnt(24)                                        // 000000008898: BF8C4F78
	buffer_load_dwordx4 a[32:35], v44, s[12:15], 0 offen       // 00000000889C: E05C1000 8083202C
	v_pk_mul_f32 v[54:55], v[144:145], v[144:145]              // 0000000088A4: D3B14036 18032190
	v_pk_mul_f32 v[56:57], v[146:147], v[146:147]              // 0000000088AC: D3B14038 18032592
	v_pk_fma_f32 v[54:55], v[54:55], s[82:83], v[58:59]        // 0000000088B4: D3B04036 1CE8A536
	v_pk_fma_f32 v[56:57], v[56:57], s[82:83], v[58:59]        // 0000000088BC: D3B04038 1CE8A538
	v_pk_mul_f32 v[54:55], v[54:55], v[144:145]                // 0000000088C4: D3B14036 18032136
	v_pk_mul_f32 v[56:57], v[56:57], v[146:147]                // 0000000088CC: D3B14038 18032538
	v_pk_mul_f32 v[54:55], v[54:55], s[6:7]                    // 0000000088D4: D3B14036 18000D36
	v_pk_mul_f32 v[56:57], v[56:57], s[6:7]                    // 0000000088DC: D3B14038 18000D38
	v_exp_f32_e32 v54, v54                                     // 0000000088E4: 7E6C4136
	v_exp_f32_e32 v55, v55                                     // 0000000088E8: 7E6E4137
	v_exp_f32_e32 v56, v56                                     // 0000000088EC: 7E704138
	v_exp_f32_e32 v57, v57                                     // 0000000088F0: 7E724139
	buffer_load_dwordx4 a[36:39], v44, s[12:15], 0 offen offset:1024// 0000000088F4: E05C1400 8083242C
	v_add_f32_e64 v54, v54, 1.0                                // 0000000088FC: D1010036 0001E536
	v_add_f32_e64 v55, v55, 1.0                                // 000000008904: D1010037 0001E537
	v_add_f32_e64 v56, v56, 1.0                                // 00000000890C: D1010038 0001E538
	v_add_f32_e64 v57, v57, 1.0                                // 000000008914: D1010039 0001E539
	v_rcp_f32_e32 v54, v54                                     // 00000000891C: 7E6C4536
	v_rcp_f32_e32 v55, v55                                     // 000000008920: 7E6E4537
	v_rcp_f32_e32 v56, v56                                     // 000000008924: 7E704538
	v_rcp_f32_e32 v57, v57                                     // 000000008928: 7E724539
	v_pk_mul_f32 v[144:145], v[144:145], v[54:55]              // 00000000892C: D3B14090 18026D90
	v_pk_mul_f32 v[146:147], v[146:147], v[56:57]              // 000000008934: D3B14092 18027192
	buffer_load_dwordx4 a[40:43], v44, s[12:15], 0 offen offset:2048// 00000000893C: E05C1800 8083282C
	v_pk_mul_f32 v[54:55], v[148:149], v[148:149]              // 000000008944: D3B14036 18032994
	v_pk_mul_f32 v[56:57], v[150:151], v[150:151]              // 00000000894C: D3B14038 18032D96
	v_pk_fma_f32 v[54:55], v[54:55], s[82:83], v[58:59]        // 000000008954: D3B04036 1CE8A536
	v_pk_fma_f32 v[56:57], v[56:57], s[82:83], v[58:59]        // 00000000895C: D3B04038 1CE8A538
	v_pk_mul_f32 v[54:55], v[54:55], v[148:149]                // 000000008964: D3B14036 18032936
	v_pk_mul_f32 v[56:57], v[56:57], v[150:151]                // 00000000896C: D3B14038 18032D38
	v_pk_mul_f32 v[54:55], v[54:55], s[6:7]                    // 000000008974: D3B14036 18000D36
	v_pk_mul_f32 v[56:57], v[56:57], s[6:7]                    // 00000000897C: D3B14038 18000D38
	v_exp_f32_e32 v54, v54                                     // 000000008984: 7E6C4136
	v_exp_f32_e32 v55, v55                                     // 000000008988: 7E6E4137
	v_exp_f32_e32 v56, v56                                     // 00000000898C: 7E704138
	v_exp_f32_e32 v57, v57                                     // 000000008990: 7E724139
	buffer_load_dwordx4 a[44:47], v44, s[12:15], 0 offen offset:3072// 000000008994: E05C1C00 80832C2C
	v_add_f32_e64 v54, v54, 1.0                                // 00000000899C: D1010036 0001E536
	v_add_f32_e64 v55, v55, 1.0                                // 0000000089A4: D1010037 0001E537
	v_add_f32_e64 v56, v56, 1.0                                // 0000000089AC: D1010038 0001E538
	v_add_f32_e64 v57, v57, 1.0                                // 0000000089B4: D1010039 0001E539
	v_rcp_f32_e32 v54, v54                                     // 0000000089BC: 7E6C4536
	v_rcp_f32_e32 v55, v55                                     // 0000000089C0: 7E6E4537
	v_rcp_f32_e32 v56, v56                                     // 0000000089C4: 7E704538
	v_rcp_f32_e32 v57, v57                                     // 0000000089C8: 7E724539
	v_pk_mul_f32 v[148:149], v[148:149], v[54:55]              // 0000000089CC: D3B14094 18026D94
	v_pk_mul_f32 v[150:151], v[150:151], v[56:57]              // 0000000089D4: D3B14096 18027196
	buffer_load_dwordx4 a[48:51], v45, s[12:15], 0 offen       // 0000000089DC: E05C1000 8083302D
	v_pk_mul_f32 v[54:55], v[152:153], v[152:153]              // 0000000089E4: D3B14036 18033198
	v_pk_mul_f32 v[56:57], v[154:155], v[154:155]              // 0000000089EC: D3B14038 1803359A
	v_pk_fma_f32 v[54:55], v[54:55], s[82:83], v[58:59]        // 0000000089F4: D3B04036 1CE8A536
	v_pk_fma_f32 v[56:57], v[56:57], s[82:83], v[58:59]        // 0000000089FC: D3B04038 1CE8A538
	v_pk_mul_f32 v[54:55], v[54:55], v[152:153]                // 000000008A04: D3B14036 18033136
	v_pk_mul_f32 v[56:57], v[56:57], v[154:155]                // 000000008A0C: D3B14038 18033538
	v_pk_mul_f32 v[54:55], v[54:55], s[6:7]                    // 000000008A14: D3B14036 18000D36
	v_pk_mul_f32 v[56:57], v[56:57], s[6:7]                    // 000000008A1C: D3B14038 18000D38
	v_exp_f32_e32 v54, v54                                     // 000000008A24: 7E6C4136
	v_exp_f32_e32 v55, v55                                     // 000000008A28: 7E6E4137
	v_exp_f32_e32 v56, v56                                     // 000000008A2C: 7E704138
	v_exp_f32_e32 v57, v57                                     // 000000008A30: 7E724139
	buffer_load_dwordx4 a[52:55], v45, s[12:15], 0 offen offset:1024// 000000008A34: E05C1400 8083342D
	v_add_f32_e64 v54, v54, 1.0                                // 000000008A3C: D1010036 0001E536
	v_add_f32_e64 v55, v55, 1.0                                // 000000008A44: D1010037 0001E537
	v_add_f32_e64 v56, v56, 1.0                                // 000000008A4C: D1010038 0001E538
	v_add_f32_e64 v57, v57, 1.0                                // 000000008A54: D1010039 0001E539
	v_rcp_f32_e32 v54, v54                                     // 000000008A5C: 7E6C4536
	v_rcp_f32_e32 v55, v55                                     // 000000008A60: 7E6E4537
	v_rcp_f32_e32 v56, v56                                     // 000000008A64: 7E704538
	v_rcp_f32_e32 v57, v57                                     // 000000008A68: 7E724539
	v_pk_mul_f32 v[152:153], v[152:153], v[54:55]              // 000000008A6C: D3B14098 18026D98
	v_pk_mul_f32 v[154:155], v[154:155], v[56:57]              // 000000008A74: D3B1409A 1802719A
	buffer_load_dwordx4 a[56:59], v45, s[12:15], 0 offen offset:2048// 000000008A7C: E05C1800 8083382D
	v_pk_mul_f32 v[54:55], v[156:157], v[156:157]              // 000000008A84: D3B14036 1803399C
	v_pk_mul_f32 v[56:57], v[158:159], v[158:159]              // 000000008A8C: D3B14038 18033D9E
	v_pk_fma_f32 v[54:55], v[54:55], s[82:83], v[58:59]        // 000000008A94: D3B04036 1CE8A536
	v_pk_fma_f32 v[56:57], v[56:57], s[82:83], v[58:59]        // 000000008A9C: D3B04038 1CE8A538
	v_pk_mul_f32 v[54:55], v[54:55], v[156:157]                // 000000008AA4: D3B14036 18033936
	v_pk_mul_f32 v[56:57], v[56:57], v[158:159]                // 000000008AAC: D3B14038 18033D38
	v_pk_mul_f32 v[54:55], v[54:55], s[6:7]                    // 000000008AB4: D3B14036 18000D36
	v_pk_mul_f32 v[56:57], v[56:57], s[6:7]                    // 000000008ABC: D3B14038 18000D38
	v_exp_f32_e32 v54, v54                                     // 000000008AC4: 7E6C4136
	v_exp_f32_e32 v55, v55                                     // 000000008AC8: 7E6E4137
	v_exp_f32_e32 v56, v56                                     // 000000008ACC: 7E704138
	v_exp_f32_e32 v57, v57                                     // 000000008AD0: 7E724139
	buffer_load_dwordx4 a[60:63], v45, s[12:15], 0 offen offset:3072// 000000008AD4: E05C1C00 80833C2D
	s_add_u32 s12, s78, s12                                    // 000000008ADC: 800C0C4E
	s_addc_u32 s13, 0, s13                                     // 000000008AE0: 820D0D80
	v_add_f32_e64 v54, v54, 1.0                                // 000000008AE4: D1010036 0001E536
	v_add_f32_e64 v55, v55, 1.0                                // 000000008AEC: D1010037 0001E537
	v_add_f32_e64 v56, v56, 1.0                                // 000000008AF4: D1010038 0001E538
	v_add_f32_e64 v57, v57, 1.0                                // 000000008AFC: D1010039 0001E539
	v_rcp_f32_e32 v54, v54                                     // 000000008B04: 7E6C4536
	v_rcp_f32_e32 v55, v55                                     // 000000008B08: 7E6E4537
	v_rcp_f32_e32 v56, v56                                     // 000000008B0C: 7E704538
	v_rcp_f32_e32 v57, v57                                     // 000000008B10: 7E724539
	v_pk_mul_f32 v[156:157], v[156:157], v[54:55]              // 000000008B14: D3B1409C 18026D9C
	v_pk_mul_f32 v[158:159], v[158:159], v[56:57]              // 000000008B1C: D3B1409E 1802719E
	s_waitcnt vmcnt(24)                                        // 000000008B24: BF8C4F78
	buffer_load_dwordx4 a[64:67], v42, s[12:15], 0 offen       // 000000008B28: E05C1000 8083402A
	v_pk_mul_f32 v[54:55], v[160:161], v[160:161]              // 000000008B30: D3B14036 180341A0
	v_pk_mul_f32 v[56:57], v[162:163], v[162:163]              // 000000008B38: D3B14038 180345A2
	v_pk_fma_f32 v[54:55], v[54:55], s[82:83], v[58:59]        // 000000008B40: D3B04036 1CE8A536
	v_pk_fma_f32 v[56:57], v[56:57], s[82:83], v[58:59]        // 000000008B48: D3B04038 1CE8A538
	v_pk_mul_f32 v[54:55], v[54:55], v[160:161]                // 000000008B50: D3B14036 18034136
	v_pk_mul_f32 v[56:57], v[56:57], v[162:163]                // 000000008B58: D3B14038 18034538
	v_pk_mul_f32 v[54:55], v[54:55], s[6:7]                    // 000000008B60: D3B14036 18000D36
	v_pk_mul_f32 v[56:57], v[56:57], s[6:7]                    // 000000008B68: D3B14038 18000D38
	v_exp_f32_e32 v54, v54                                     // 000000008B70: 7E6C4136
	v_exp_f32_e32 v55, v55                                     // 000000008B74: 7E6E4137
	v_exp_f32_e32 v56, v56                                     // 000000008B78: 7E704138
	v_exp_f32_e32 v57, v57                                     // 000000008B7C: 7E724139
	buffer_load_dwordx4 a[68:71], v42, s[12:15], 0 offen offset:1024// 000000008B80: E05C1400 8083442A
	v_add_f32_e64 v54, v54, 1.0                                // 000000008B88: D1010036 0001E536
	v_add_f32_e64 v55, v55, 1.0                                // 000000008B90: D1010037 0001E537
	v_add_f32_e64 v56, v56, 1.0                                // 000000008B98: D1010038 0001E538
	v_add_f32_e64 v57, v57, 1.0                                // 000000008BA0: D1010039 0001E539
	v_rcp_f32_e32 v54, v54                                     // 000000008BA8: 7E6C4536
	v_rcp_f32_e32 v55, v55                                     // 000000008BAC: 7E6E4537
	v_rcp_f32_e32 v56, v56                                     // 000000008BB0: 7E704538
	v_rcp_f32_e32 v57, v57                                     // 000000008BB4: 7E724539
	v_pk_mul_f32 v[160:161], v[160:161], v[54:55]              // 000000008BB8: D3B140A0 18026DA0
	v_pk_mul_f32 v[162:163], v[162:163], v[56:57]              // 000000008BC0: D3B140A2 180271A2
	buffer_load_dwordx4 a[72:75], v42, s[12:15], 0 offen offset:2048// 000000008BC8: E05C1800 8083482A
	v_pk_mul_f32 v[54:55], v[164:165], v[164:165]              // 000000008BD0: D3B14036 180349A4
	v_pk_mul_f32 v[56:57], v[166:167], v[166:167]              // 000000008BD8: D3B14038 18034DA6
	v_pk_fma_f32 v[54:55], v[54:55], s[82:83], v[58:59]        // 000000008BE0: D3B04036 1CE8A536
	v_pk_fma_f32 v[56:57], v[56:57], s[82:83], v[58:59]        // 000000008BE8: D3B04038 1CE8A538
	v_pk_mul_f32 v[54:55], v[54:55], v[164:165]                // 000000008BF0: D3B14036 18034936
	v_pk_mul_f32 v[56:57], v[56:57], v[166:167]                // 000000008BF8: D3B14038 18034D38
	v_pk_mul_f32 v[54:55], v[54:55], s[6:7]                    // 000000008C00: D3B14036 18000D36
	v_pk_mul_f32 v[56:57], v[56:57], s[6:7]                    // 000000008C08: D3B14038 18000D38
	v_exp_f32_e32 v54, v54                                     // 000000008C10: 7E6C4136
	v_exp_f32_e32 v55, v55                                     // 000000008C14: 7E6E4137
	v_exp_f32_e32 v56, v56                                     // 000000008C18: 7E704138
	v_exp_f32_e32 v57, v57                                     // 000000008C1C: 7E724139
	buffer_load_dwordx4 a[76:79], v42, s[12:15], 0 offen offset:3072// 000000008C20: E05C1C00 80834C2A
	v_add_f32_e64 v54, v54, 1.0                                // 000000008C28: D1010036 0001E536
	v_add_f32_e64 v55, v55, 1.0                                // 000000008C30: D1010037 0001E537
	v_add_f32_e64 v56, v56, 1.0                                // 000000008C38: D1010038 0001E538
	v_add_f32_e64 v57, v57, 1.0                                // 000000008C40: D1010039 0001E539
	v_rcp_f32_e32 v54, v54                                     // 000000008C48: 7E6C4536
	v_rcp_f32_e32 v55, v55                                     // 000000008C4C: 7E6E4537
	v_rcp_f32_e32 v56, v56                                     // 000000008C50: 7E704538
	v_rcp_f32_e32 v57, v57                                     // 000000008C54: 7E724539
	v_pk_mul_f32 v[164:165], v[164:165], v[54:55]              // 000000008C58: D3B140A4 18026DA4
	v_pk_mul_f32 v[166:167], v[166:167], v[56:57]              // 000000008C60: D3B140A6 180271A6
	buffer_load_dwordx4 a[80:83], v43, s[12:15], 0 offen       // 000000008C68: E05C1000 8083502B
	v_pk_mul_f32 v[54:55], v[168:169], v[168:169]              // 000000008C70: D3B14036 180351A8
	v_pk_mul_f32 v[56:57], v[170:171], v[170:171]              // 000000008C78: D3B14038 180355AA
	v_pk_fma_f32 v[54:55], v[54:55], s[82:83], v[58:59]        // 000000008C80: D3B04036 1CE8A536
	v_pk_fma_f32 v[56:57], v[56:57], s[82:83], v[58:59]        // 000000008C88: D3B04038 1CE8A538
	v_pk_mul_f32 v[54:55], v[54:55], v[168:169]                // 000000008C90: D3B14036 18035136
	v_pk_mul_f32 v[56:57], v[56:57], v[170:171]                // 000000008C98: D3B14038 18035538
	v_pk_mul_f32 v[54:55], v[54:55], s[6:7]                    // 000000008CA0: D3B14036 18000D36
	v_pk_mul_f32 v[56:57], v[56:57], s[6:7]                    // 000000008CA8: D3B14038 18000D38
	v_exp_f32_e32 v54, v54                                     // 000000008CB0: 7E6C4136
	v_exp_f32_e32 v55, v55                                     // 000000008CB4: 7E6E4137
	v_exp_f32_e32 v56, v56                                     // 000000008CB8: 7E704138
	v_exp_f32_e32 v57, v57                                     // 000000008CBC: 7E724139
	buffer_load_dwordx4 a[84:87], v43, s[12:15], 0 offen offset:1024// 000000008CC0: E05C1400 8083542B
	v_add_f32_e64 v54, v54, 1.0                                // 000000008CC8: D1010036 0001E536
	v_add_f32_e64 v55, v55, 1.0                                // 000000008CD0: D1010037 0001E537
	v_add_f32_e64 v56, v56, 1.0                                // 000000008CD8: D1010038 0001E538
	v_add_f32_e64 v57, v57, 1.0                                // 000000008CE0: D1010039 0001E539
	v_rcp_f32_e32 v54, v54                                     // 000000008CE8: 7E6C4536
	v_rcp_f32_e32 v55, v55                                     // 000000008CEC: 7E6E4537
	v_rcp_f32_e32 v56, v56                                     // 000000008CF0: 7E704538
	v_rcp_f32_e32 v57, v57                                     // 000000008CF4: 7E724539
	v_pk_mul_f32 v[168:169], v[168:169], v[54:55]              // 000000008CF8: D3B140A8 18026DA8
	v_pk_mul_f32 v[170:171], v[170:171], v[56:57]              // 000000008D00: D3B140AA 180271AA
	buffer_load_dwordx4 a[88:91], v43, s[12:15], 0 offen offset:2048// 000000008D08: E05C1800 8083582B
	v_pk_mul_f32 v[54:55], v[172:173], v[172:173]              // 000000008D10: D3B14036 180359AC
	v_pk_mul_f32 v[56:57], v[174:175], v[174:175]              // 000000008D18: D3B14038 18035DAE
	v_pk_fma_f32 v[54:55], v[54:55], s[82:83], v[58:59]        // 000000008D20: D3B04036 1CE8A536
	v_pk_fma_f32 v[56:57], v[56:57], s[82:83], v[58:59]        // 000000008D28: D3B04038 1CE8A538
	v_pk_mul_f32 v[54:55], v[54:55], v[172:173]                // 000000008D30: D3B14036 18035936
	v_pk_mul_f32 v[56:57], v[56:57], v[174:175]                // 000000008D38: D3B14038 18035D38
	v_pk_mul_f32 v[54:55], v[54:55], s[6:7]                    // 000000008D40: D3B14036 18000D36
	v_pk_mul_f32 v[56:57], v[56:57], s[6:7]                    // 000000008D48: D3B14038 18000D38
	v_exp_f32_e32 v54, v54                                     // 000000008D50: 7E6C4136
	v_exp_f32_e32 v55, v55                                     // 000000008D54: 7E6E4137
	v_exp_f32_e32 v56, v56                                     // 000000008D58: 7E704138
	v_exp_f32_e32 v57, v57                                     // 000000008D5C: 7E724139
	buffer_load_dwordx4 a[92:95], v43, s[12:15], 0 offen offset:3072// 000000008D60: E05C1C00 80835C2B
	v_add_f32_e64 v54, v54, 1.0                                // 000000008D68: D1010036 0001E536
	v_add_f32_e64 v55, v55, 1.0                                // 000000008D70: D1010037 0001E537
	v_add_f32_e64 v56, v56, 1.0                                // 000000008D78: D1010038 0001E538
	v_add_f32_e64 v57, v57, 1.0                                // 000000008D80: D1010039 0001E539
	v_rcp_f32_e32 v54, v54                                     // 000000008D88: 7E6C4536
	v_rcp_f32_e32 v55, v55                                     // 000000008D8C: 7E6E4537
	v_rcp_f32_e32 v56, v56                                     // 000000008D90: 7E704538
	v_rcp_f32_e32 v57, v57                                     // 000000008D94: 7E724539
	v_pk_mul_f32 v[172:173], v[172:173], v[54:55]              // 000000008D98: D3B140AC 18026DAC
	v_pk_mul_f32 v[174:175], v[174:175], v[56:57]              // 000000008DA0: D3B140AE 180271AE
	s_waitcnt vmcnt(24)                                        // 000000008DA8: BF8C4F78
	buffer_load_dwordx4 a[96:99], v44, s[12:15], 0 offen       // 000000008DAC: E05C1000 8083602C
	v_pk_mul_f32 v[54:55], v[176:177], v[176:177]              // 000000008DB4: D3B14036 180361B0
	v_pk_mul_f32 v[56:57], v[178:179], v[178:179]              // 000000008DBC: D3B14038 180365B2
	v_pk_fma_f32 v[54:55], v[54:55], s[82:83], v[58:59]        // 000000008DC4: D3B04036 1CE8A536
	v_pk_fma_f32 v[56:57], v[56:57], s[82:83], v[58:59]        // 000000008DCC: D3B04038 1CE8A538
	v_pk_mul_f32 v[54:55], v[54:55], v[176:177]                // 000000008DD4: D3B14036 18036136
	v_pk_mul_f32 v[56:57], v[56:57], v[178:179]                // 000000008DDC: D3B14038 18036538
	v_pk_mul_f32 v[54:55], v[54:55], s[6:7]                    // 000000008DE4: D3B14036 18000D36
	v_pk_mul_f32 v[56:57], v[56:57], s[6:7]                    // 000000008DEC: D3B14038 18000D38
	v_exp_f32_e32 v54, v54                                     // 000000008DF4: 7E6C4136
	v_exp_f32_e32 v55, v55                                     // 000000008DF8: 7E6E4137
	v_exp_f32_e32 v56, v56                                     // 000000008DFC: 7E704138
	v_exp_f32_e32 v57, v57                                     // 000000008E00: 7E724139
	buffer_load_dwordx4 a[100:103], v44, s[12:15], 0 offen offset:1024// 000000008E04: E05C1400 8083642C
	v_add_f32_e64 v54, v54, 1.0                                // 000000008E0C: D1010036 0001E536
	v_add_f32_e64 v55, v55, 1.0                                // 000000008E14: D1010037 0001E537
	v_add_f32_e64 v56, v56, 1.0                                // 000000008E1C: D1010038 0001E538
	v_add_f32_e64 v57, v57, 1.0                                // 000000008E24: D1010039 0001E539
	v_rcp_f32_e32 v54, v54                                     // 000000008E2C: 7E6C4536
	v_rcp_f32_e32 v55, v55                                     // 000000008E30: 7E6E4537
	v_rcp_f32_e32 v56, v56                                     // 000000008E34: 7E704538
	v_rcp_f32_e32 v57, v57                                     // 000000008E38: 7E724539
	v_pk_mul_f32 v[176:177], v[176:177], v[54:55]              // 000000008E3C: D3B140B0 18026DB0
	v_pk_mul_f32 v[178:179], v[178:179], v[56:57]              // 000000008E44: D3B140B2 180271B2
	buffer_load_dwordx4 a[104:107], v44, s[12:15], 0 offen offset:2048// 000000008E4C: E05C1800 8083682C
	v_pk_mul_f32 v[54:55], v[180:181], v[180:181]              // 000000008E54: D3B14036 180369B4
	v_pk_mul_f32 v[56:57], v[182:183], v[182:183]              // 000000008E5C: D3B14038 18036DB6
	v_pk_fma_f32 v[54:55], v[54:55], s[82:83], v[58:59]        // 000000008E64: D3B04036 1CE8A536
	v_pk_fma_f32 v[56:57], v[56:57], s[82:83], v[58:59]        // 000000008E6C: D3B04038 1CE8A538
	v_pk_mul_f32 v[54:55], v[54:55], v[180:181]                // 000000008E74: D3B14036 18036936
	v_pk_mul_f32 v[56:57], v[56:57], v[182:183]                // 000000008E7C: D3B14038 18036D38
	v_pk_mul_f32 v[54:55], v[54:55], s[6:7]                    // 000000008E84: D3B14036 18000D36
	v_pk_mul_f32 v[56:57], v[56:57], s[6:7]                    // 000000008E8C: D3B14038 18000D38
	v_exp_f32_e32 v54, v54                                     // 000000008E94: 7E6C4136
	v_exp_f32_e32 v55, v55                                     // 000000008E98: 7E6E4137
	v_exp_f32_e32 v56, v56                                     // 000000008E9C: 7E704138
	v_exp_f32_e32 v57, v57                                     // 000000008EA0: 7E724139
	buffer_load_dwordx4 a[108:111], v44, s[12:15], 0 offen offset:3072// 000000008EA4: E05C1C00 80836C2C
	v_add_f32_e64 v54, v54, 1.0                                // 000000008EAC: D1010036 0001E536
	v_add_f32_e64 v55, v55, 1.0                                // 000000008EB4: D1010037 0001E537
	v_add_f32_e64 v56, v56, 1.0                                // 000000008EBC: D1010038 0001E538
	v_add_f32_e64 v57, v57, 1.0                                // 000000008EC4: D1010039 0001E539
	v_rcp_f32_e32 v54, v54                                     // 000000008ECC: 7E6C4536
	v_rcp_f32_e32 v55, v55                                     // 000000008ED0: 7E6E4537
	v_rcp_f32_e32 v56, v56                                     // 000000008ED4: 7E704538
	v_rcp_f32_e32 v57, v57                                     // 000000008ED8: 7E724539
	v_pk_mul_f32 v[180:181], v[180:181], v[54:55]              // 000000008EDC: D3B140B4 18026DB4
	v_pk_mul_f32 v[182:183], v[182:183], v[56:57]              // 000000008EE4: D3B140B6 180271B6
	buffer_load_dwordx4 a[112:115], v45, s[12:15], 0 offen     // 000000008EEC: E05C1000 8083702D
	v_pk_mul_f32 v[54:55], v[184:185], v[184:185]              // 000000008EF4: D3B14036 180371B8
	v_pk_mul_f32 v[56:57], v[186:187], v[186:187]              // 000000008EFC: D3B14038 180375BA
	v_pk_fma_f32 v[54:55], v[54:55], s[82:83], v[58:59]        // 000000008F04: D3B04036 1CE8A536
	v_pk_fma_f32 v[56:57], v[56:57], s[82:83], v[58:59]        // 000000008F0C: D3B04038 1CE8A538
	v_pk_mul_f32 v[54:55], v[54:55], v[184:185]                // 000000008F14: D3B14036 18037136
	v_pk_mul_f32 v[56:57], v[56:57], v[186:187]                // 000000008F1C: D3B14038 18037538
	v_pk_mul_f32 v[54:55], v[54:55], s[6:7]                    // 000000008F24: D3B14036 18000D36
	v_pk_mul_f32 v[56:57], v[56:57], s[6:7]                    // 000000008F2C: D3B14038 18000D38
	v_exp_f32_e32 v54, v54                                     // 000000008F34: 7E6C4136
	v_exp_f32_e32 v55, v55                                     // 000000008F38: 7E6E4137
	v_exp_f32_e32 v56, v56                                     // 000000008F3C: 7E704138
	v_exp_f32_e32 v57, v57                                     // 000000008F40: 7E724139
	buffer_load_dwordx4 a[116:119], v45, s[12:15], 0 offen offset:1024// 000000008F44: E05C1400 8083742D
	v_add_f32_e64 v54, v54, 1.0                                // 000000008F4C: D1010036 0001E536
	v_add_f32_e64 v55, v55, 1.0                                // 000000008F54: D1010037 0001E537
	v_add_f32_e64 v56, v56, 1.0                                // 000000008F5C: D1010038 0001E538
	v_add_f32_e64 v57, v57, 1.0                                // 000000008F64: D1010039 0001E539
	v_rcp_f32_e32 v54, v54                                     // 000000008F6C: 7E6C4536
	v_rcp_f32_e32 v55, v55                                     // 000000008F70: 7E6E4537
	v_rcp_f32_e32 v56, v56                                     // 000000008F74: 7E704538
	v_rcp_f32_e32 v57, v57                                     // 000000008F78: 7E724539
	v_pk_mul_f32 v[184:185], v[184:185], v[54:55]              // 000000008F7C: D3B140B8 18026DB8
	v_pk_mul_f32 v[186:187], v[186:187], v[56:57]              // 000000008F84: D3B140BA 180271BA
	buffer_load_dwordx4 a[120:123], v45, s[12:15], 0 offen offset:2048// 000000008F8C: E05C1800 8083782D
	v_pk_mul_f32 v[54:55], v[188:189], v[188:189]              // 000000008F94: D3B14036 180379BC
	v_pk_mul_f32 v[56:57], v[190:191], v[190:191]              // 000000008F9C: D3B14038 18037DBE
	v_pk_fma_f32 v[54:55], v[54:55], s[82:83], v[58:59]        // 000000008FA4: D3B04036 1CE8A536
	v_pk_fma_f32 v[56:57], v[56:57], s[82:83], v[58:59]        // 000000008FAC: D3B04038 1CE8A538
	v_pk_mul_f32 v[54:55], v[54:55], v[188:189]                // 000000008FB4: D3B14036 18037936
	v_pk_mul_f32 v[56:57], v[56:57], v[190:191]                // 000000008FBC: D3B14038 18037D38
	v_pk_mul_f32 v[54:55], v[54:55], s[6:7]                    // 000000008FC4: D3B14036 18000D36
	v_pk_mul_f32 v[56:57], v[56:57], s[6:7]                    // 000000008FCC: D3B14038 18000D38
	v_exp_f32_e32 v54, v54                                     // 000000008FD4: 7E6C4136
	v_exp_f32_e32 v55, v55                                     // 000000008FD8: 7E6E4137
	v_exp_f32_e32 v56, v56                                     // 000000008FDC: 7E704138
	v_exp_f32_e32 v57, v57                                     // 000000008FE0: 7E724139
	buffer_load_dwordx4 a[124:127], v45, s[12:15], 0 offen offset:3072// 000000008FE4: E05C1C00 80837C2D
	v_add_f32_e64 v54, v54, 1.0                                // 000000008FEC: D1010036 0001E536
	v_add_f32_e64 v55, v55, 1.0                                // 000000008FF4: D1010037 0001E537
	v_add_f32_e64 v56, v56, 1.0                                // 000000008FFC: D1010038 0001E538
	v_add_f32_e64 v57, v57, 1.0                                // 000000009004: D1010039 0001E539
	v_rcp_f32_e32 v54, v54                                     // 00000000900C: 7E6C4536
	v_rcp_f32_e32 v55, v55                                     // 000000009010: 7E6E4537
	v_rcp_f32_e32 v56, v56                                     // 000000009014: 7E704538
	v_rcp_f32_e32 v57, v57                                     // 000000009018: 7E724539
	v_pk_mul_f32 v[188:189], v[188:189], v[54:55]              // 00000000901C: D3B140BC 18026DBC
	v_pk_mul_f32 v[190:191], v[190:191], v[56:57]              // 000000009024: D3B140BE 180271BE
	v_mul_f32_dpp v128, v18, v128 row_newbcast:0 row_mask:0xf bank_mask:0xf// 00000000902C: 0B0100FA FF015012
	v_mul_f32_dpp v129, v18, v129 row_newbcast:1 row_mask:0xf bank_mask:0xf// 000000009034: 0B0302FA FF015112
	v_mul_f32_dpp v130, v18, v130 row_newbcast:2 row_mask:0xf bank_mask:0xf// 00000000903C: 0B0504FA FF015212
	v_mul_f32_dpp v131, v18, v131 row_newbcast:3 row_mask:0xf bank_mask:0xf// 000000009044: 0B0706FA FF015312
	v_mul_f32_dpp v132, v18, v132 row_newbcast:0 row_mask:0xf bank_mask:0xf// 00000000904C: 0B0908FA FF015012
	v_mul_f32_dpp v133, v18, v133 row_newbcast:1 row_mask:0xf bank_mask:0xf// 000000009054: 0B0B0AFA FF015112
	v_mul_f32_dpp v134, v18, v134 row_newbcast:2 row_mask:0xf bank_mask:0xf// 00000000905C: 0B0D0CFA FF015212
	v_mul_f32_dpp v135, v18, v135 row_newbcast:3 row_mask:0xf bank_mask:0xf// 000000009064: 0B0F0EFA FF015312
	v_mul_f32_dpp v136, v18, v136 row_newbcast:4 row_mask:0xf bank_mask:0xf// 00000000906C: 0B1110FA FF015412
	v_mul_f32_dpp v137, v18, v137 row_newbcast:5 row_mask:0xf bank_mask:0xf// 000000009074: 0B1312FA FF015512
	v_mul_f32_dpp v138, v18, v138 row_newbcast:6 row_mask:0xf bank_mask:0xf// 00000000907C: 0B1514FA FF015612
	v_mul_f32_dpp v139, v18, v139 row_newbcast:7 row_mask:0xf bank_mask:0xf// 000000009084: 0B1716FA FF015712
	v_mul_f32_dpp v140, v18, v140 row_newbcast:4 row_mask:0xf bank_mask:0xf// 00000000908C: 0B1918FA FF015412
	v_mul_f32_dpp v141, v18, v141 row_newbcast:5 row_mask:0xf bank_mask:0xf// 000000009094: 0B1B1AFA FF015512
	v_mul_f32_dpp v142, v18, v142 row_newbcast:6 row_mask:0xf bank_mask:0xf// 00000000909C: 0B1D1CFA FF015612
	v_mul_f32_dpp v143, v18, v143 row_newbcast:7 row_mask:0xf bank_mask:0xf// 0000000090A4: 0B1F1EFA FF015712
	v_mul_f32_dpp v144, v18, v144 row_newbcast:8 row_mask:0xf bank_mask:0xf// 0000000090AC: 0B2120FA FF015812
	v_mul_f32_dpp v145, v18, v145 row_newbcast:9 row_mask:0xf bank_mask:0xf// 0000000090B4: 0B2322FA FF015912
	v_mul_f32_dpp v146, v18, v146 row_newbcast:10 row_mask:0xf bank_mask:0xf// 0000000090BC: 0B2524FA FF015A12
	v_mul_f32_dpp v147, v18, v147 row_newbcast:11 row_mask:0xf bank_mask:0xf// 0000000090C4: 0B2726FA FF015B12
	v_mul_f32_dpp v148, v18, v148 row_newbcast:8 row_mask:0xf bank_mask:0xf// 0000000090CC: 0B2928FA FF015812
	v_mul_f32_dpp v149, v18, v149 row_newbcast:9 row_mask:0xf bank_mask:0xf// 0000000090D4: 0B2B2AFA FF015912
	v_mul_f32_dpp v150, v18, v150 row_newbcast:10 row_mask:0xf bank_mask:0xf// 0000000090DC: 0B2D2CFA FF015A12
	v_mul_f32_dpp v151, v18, v151 row_newbcast:11 row_mask:0xf bank_mask:0xf// 0000000090E4: 0B2F2EFA FF015B12
	v_mul_f32_dpp v152, v18, v152 row_newbcast:12 row_mask:0xf bank_mask:0xf// 0000000090EC: 0B3130FA FF015C12
	v_mul_f32_dpp v153, v18, v153 row_newbcast:13 row_mask:0xf bank_mask:0xf// 0000000090F4: 0B3332FA FF015D12
	v_mul_f32_dpp v154, v18, v154 row_newbcast:14 row_mask:0xf bank_mask:0xf// 0000000090FC: 0B3534FA FF015E12
	v_mul_f32_dpp v155, v18, v155 row_newbcast:15 row_mask:0xf bank_mask:0xf// 000000009104: 0B3736FA FF015F12
	v_mul_f32_dpp v156, v18, v156 row_newbcast:12 row_mask:0xf bank_mask:0xf// 00000000910C: 0B3938FA FF015C12
	v_mul_f32_dpp v157, v18, v157 row_newbcast:13 row_mask:0xf bank_mask:0xf// 000000009114: 0B3B3AFA FF015D12
	v_mul_f32_dpp v158, v18, v158 row_newbcast:14 row_mask:0xf bank_mask:0xf// 00000000911C: 0B3D3CFA FF015E12
	v_mul_f32_dpp v159, v18, v159 row_newbcast:15 row_mask:0xf bank_mask:0xf// 000000009124: 0B3F3EFA FF015F12
	v_mul_f32_dpp v160, v19, v160 row_newbcast:0 row_mask:0xf bank_mask:0xf// 00000000912C: 0B4140FA FF015013
	v_mul_f32_dpp v161, v19, v161 row_newbcast:1 row_mask:0xf bank_mask:0xf// 000000009134: 0B4342FA FF015113
	v_mul_f32_dpp v162, v19, v162 row_newbcast:2 row_mask:0xf bank_mask:0xf// 00000000913C: 0B4544FA FF015213
	v_mul_f32_dpp v163, v19, v163 row_newbcast:3 row_mask:0xf bank_mask:0xf// 000000009144: 0B4746FA FF015313
	v_mul_f32_dpp v164, v19, v164 row_newbcast:0 row_mask:0xf bank_mask:0xf// 00000000914C: 0B4948FA FF015013
	v_mul_f32_dpp v165, v19, v165 row_newbcast:1 row_mask:0xf bank_mask:0xf// 000000009154: 0B4B4AFA FF015113
	v_mul_f32_dpp v166, v19, v166 row_newbcast:2 row_mask:0xf bank_mask:0xf// 00000000915C: 0B4D4CFA FF015213
	v_mul_f32_dpp v167, v19, v167 row_newbcast:3 row_mask:0xf bank_mask:0xf// 000000009164: 0B4F4EFA FF015313
	v_mul_f32_dpp v168, v19, v168 row_newbcast:4 row_mask:0xf bank_mask:0xf// 00000000916C: 0B5150FA FF015413
	v_mul_f32_dpp v169, v19, v169 row_newbcast:5 row_mask:0xf bank_mask:0xf// 000000009174: 0B5352FA FF015513
	v_mul_f32_dpp v170, v19, v170 row_newbcast:6 row_mask:0xf bank_mask:0xf// 00000000917C: 0B5554FA FF015613
	v_mul_f32_dpp v171, v19, v171 row_newbcast:7 row_mask:0xf bank_mask:0xf// 000000009184: 0B5756FA FF015713
	v_mul_f32_dpp v172, v19, v172 row_newbcast:4 row_mask:0xf bank_mask:0xf// 00000000918C: 0B5958FA FF015413
	v_mul_f32_dpp v173, v19, v173 row_newbcast:5 row_mask:0xf bank_mask:0xf// 000000009194: 0B5B5AFA FF015513
	v_mul_f32_dpp v174, v19, v174 row_newbcast:6 row_mask:0xf bank_mask:0xf// 00000000919C: 0B5D5CFA FF015613
	v_mul_f32_dpp v175, v19, v175 row_newbcast:7 row_mask:0xf bank_mask:0xf// 0000000091A4: 0B5F5EFA FF015713
	v_mul_f32_dpp v176, v19, v176 row_newbcast:8 row_mask:0xf bank_mask:0xf// 0000000091AC: 0B6160FA FF015813
	v_mul_f32_dpp v177, v19, v177 row_newbcast:9 row_mask:0xf bank_mask:0xf// 0000000091B4: 0B6362FA FF015913
	v_mul_f32_dpp v178, v19, v178 row_newbcast:10 row_mask:0xf bank_mask:0xf// 0000000091BC: 0B6564FA FF015A13
	v_mul_f32_dpp v179, v19, v179 row_newbcast:11 row_mask:0xf bank_mask:0xf// 0000000091C4: 0B6766FA FF015B13
	v_mul_f32_dpp v180, v19, v180 row_newbcast:8 row_mask:0xf bank_mask:0xf// 0000000091CC: 0B6968FA FF015813
	v_mul_f32_dpp v181, v19, v181 row_newbcast:9 row_mask:0xf bank_mask:0xf// 0000000091D4: 0B6B6AFA FF015913
	v_mul_f32_dpp v182, v19, v182 row_newbcast:10 row_mask:0xf bank_mask:0xf// 0000000091DC: 0B6D6CFA FF015A13
	v_mul_f32_dpp v183, v19, v183 row_newbcast:11 row_mask:0xf bank_mask:0xf// 0000000091E4: 0B6F6EFA FF015B13
	v_mul_f32_dpp v184, v19, v184 row_newbcast:12 row_mask:0xf bank_mask:0xf// 0000000091EC: 0B7170FA FF015C13
	v_mul_f32_dpp v185, v19, v185 row_newbcast:13 row_mask:0xf bank_mask:0xf// 0000000091F4: 0B7372FA FF015D13
	v_mul_f32_dpp v186, v19, v186 row_newbcast:14 row_mask:0xf bank_mask:0xf// 0000000091FC: 0B7574FA FF015E13
	v_mul_f32_dpp v187, v19, v187 row_newbcast:15 row_mask:0xf bank_mask:0xf// 000000009204: 0B7776FA FF015F13
	v_mul_f32_dpp v188, v19, v188 row_newbcast:12 row_mask:0xf bank_mask:0xf// 00000000920C: 0B7978FA FF015C13
	v_mul_f32_dpp v189, v19, v189 row_newbcast:13 row_mask:0xf bank_mask:0xf// 000000009214: 0B7B7AFA FF015D13
	v_mul_f32_dpp v190, v19, v190 row_newbcast:14 row_mask:0xf bank_mask:0xf// 00000000921C: 0B7D7CFA FF015E13
	v_mul_f32_dpp v191, v19, v191 row_newbcast:15 row_mask:0xf bank_mask:0xf// 000000009224: 0B7F7EFA FF015F13
	buffer_load_dword v12, v5, s[16:19], 0 offen               // 00000000922C: E0501000 80040C05
	v_mov_b32_e32 v22, 0x358637bd                              // 000000009234: 7E2C02FF 358637BD
	v_mov_b32_e32 v23, 0x358637bd                              // 00000000923C: 7E2E02FF 358637BD
	v_max3_f32 v22, |v128|, |v129|, v22                        // 000000009244: D1D30316 045B0380
	v_max3_f32 v22, |v130|, |v131|, v22                        // 00000000924C: D1D30316 045B0782
	v_max3_f32 v23, |v132|, |v133|, v23                        // 000000009254: D1D30317 045F0B84
	v_max3_f32 v23, |v134|, |v135|, v23                        // 00000000925C: D1D30317 045F0F86
	v_max3_f32 v22, |v136|, |v137|, v22                        // 000000009264: D1D30316 045B1388
	v_max3_f32 v22, |v138|, |v139|, v22                        // 00000000926C: D1D30316 045B178A
	v_max3_f32 v23, |v140|, |v141|, v23                        // 000000009274: D1D30317 045F1B8C
	v_max3_f32 v23, |v142|, |v143|, v23                        // 00000000927C: D1D30317 045F1F8E
	v_max3_f32 v22, |v144|, |v145|, v22                        // 000000009284: D1D30316 045B2390
	v_max3_f32 v22, |v146|, |v147|, v22                        // 00000000928C: D1D30316 045B2792
	v_max3_f32 v23, |v148|, |v149|, v23                        // 000000009294: D1D30317 045F2B94
	v_max3_f32 v23, |v150|, |v151|, v23                        // 00000000929C: D1D30317 045F2F96
	v_max3_f32 v22, |v152|, |v153|, v22                        // 0000000092A4: D1D30316 045B3398
	v_max3_f32 v22, |v154|, |v155|, v22                        // 0000000092AC: D1D30316 045B379A
	v_max3_f32 v23, |v156|, |v157|, v23                        // 0000000092B4: D1D30317 045F3B9C
	v_max3_f32 v23, |v158|, |v159|, v23                        // 0000000092BC: D1D30317 045F3F9E
	v_max3_f32 v22, |v160|, |v161|, v22                        // 0000000092C4: D1D30316 045B43A0
	v_max3_f32 v22, |v162|, |v163|, v22                        // 0000000092CC: D1D30316 045B47A2
	v_max3_f32 v23, |v164|, |v165|, v23                        // 0000000092D4: D1D30317 045F4BA4
	v_max3_f32 v23, |v166|, |v167|, v23                        // 0000000092DC: D1D30317 045F4FA6
	v_max3_f32 v22, |v168|, |v169|, v22                        // 0000000092E4: D1D30316 045B53A8
	v_max3_f32 v22, |v170|, |v171|, v22                        // 0000000092EC: D1D30316 045B57AA
	v_max3_f32 v23, |v172|, |v173|, v23                        // 0000000092F4: D1D30317 045F5BAC
	v_max3_f32 v23, |v174|, |v175|, v23                        // 0000000092FC: D1D30317 045F5FAE
	v_max3_f32 v22, |v176|, |v177|, v22                        // 000000009304: D1D30316 045B63B0
	v_max3_f32 v22, |v178|, |v179|, v22                        // 00000000930C: D1D30316 045B67B2
	v_max3_f32 v23, |v180|, |v181|, v23                        // 000000009314: D1D30317 045F6BB4
	v_max3_f32 v23, |v182|, |v183|, v23                        // 00000000931C: D1D30317 045F6FB6
	v_max3_f32 v22, |v184|, |v185|, v22                        // 000000009324: D1D30316 045B73B8
	v_max3_f32 v22, |v186|, |v187|, v22                        // 00000000932C: D1D30316 045B77BA
	v_max3_f32 v23, |v188|, |v189|, v23                        // 000000009334: D1D30317 045F7BBC
	v_max3_f32 v23, |v190|, |v191|, v23                        // 00000000933C: D1D30317 045F7FBE
	v_lshlrev_b32_e32 v54, 3, v0                               // 000000009344: 246C0083
	s_mul_i32 s60, 0x200, s5                                   // 000000009348: 923C05FF 00000200
	v_add_u32_e32 v54, s60, v54                                // 000000009350: 686C6C3C
	ds_write_b64 v54, v[22:23] offset:16640                    // 000000009354: D89A4100 00001636
	s_waitcnt lgkmcnt(0)                                       // 00000000935C: BF8CC07F
	s_barrier                                                  // 000000009360: BF8A0000
	v_and_b32_e32 v54, 15, v0                                  // 000000009364: 266C008F
	v_lshlrev_b32_e32 v54, 3, v54                              // 000000009368: 246C6C83
	ds_read_b64 v[96:97], v54 offset:16640                     // 00000000936C: D8EC4100 60000036
	ds_read_b64 v[98:99], v54 offset:16768                     // 000000009374: D8EC4180 62000036
	ds_read_b64 v[100:101], v54 offset:16896                   // 00000000937C: D8EC4200 64000036
	ds_read_b64 v[102:103], v54 offset:17024                   // 000000009384: D8EC4280 66000036
	ds_read_b64 v[104:105], v54 offset:17152                   // 00000000938C: D8EC4300 68000036
	ds_read_b64 v[106:107], v54 offset:17280                   // 000000009394: D8EC4380 6A000036
	ds_read_b64 v[108:109], v54 offset:17408                   // 00000000939C: D8EC4400 6C000036
	ds_read_b64 v[110:111], v54 offset:17536                   // 0000000093A4: D8EC4480 6E000036
	ds_read_b64 v[112:113], v54 offset:17664                   // 0000000093AC: D8EC4500 70000036
	ds_read_b64 v[114:115], v54 offset:17792                   // 0000000093B4: D8EC4580 72000036
	ds_read_b64 v[116:117], v54 offset:17920                   // 0000000093BC: D8EC4600 74000036
	ds_read_b64 v[118:119], v54 offset:18048                   // 0000000093C4: D8EC4680 76000036
	ds_read_b64 v[120:121], v54 offset:18176                   // 0000000093CC: D8EC4700 78000036
	ds_read_b64 v[122:123], v54 offset:18304                   // 0000000093D4: D8EC4780 7A000036
	ds_read_b64 v[124:125], v54 offset:18432                   // 0000000093DC: D8EC4800 7C000036
	ds_read_b64 v[126:127], v54 offset:18560                   // 0000000093E4: D8EC4880 7E000036
	s_waitcnt lgkmcnt(0)                                       // 0000000093EC: BF8CC07F
	v_max3_f32 v22, |v96|, |v98|, v22                          // 0000000093F0: D1D30316 045AC560
	v_max3_f32 v23, |v97|, |v99|, v23                          // 0000000093F8: D1D30317 045EC761
	v_max3_f32 v22, |v100|, |v102|, v22                        // 000000009400: D1D30316 045ACD64
	v_max3_f32 v23, |v101|, |v103|, v23                        // 000000009408: D1D30317 045ECF65
	v_max3_f32 v22, |v104|, |v106|, v22                        // 000000009410: D1D30316 045AD568
	v_max3_f32 v23, |v105|, |v107|, v23                        // 000000009418: D1D30317 045ED769
	v_max3_f32 v22, |v108|, |v110|, v22                        // 000000009420: D1D30316 045ADD6C
	v_max3_f32 v23, |v109|, |v111|, v23                        // 000000009428: D1D30317 045EDF6D
	v_max3_f32 v22, |v112|, |v114|, v22                        // 000000009430: D1D30316 045AE570
	v_max3_f32 v23, |v113|, |v115|, v23                        // 000000009438: D1D30317 045EE771
	v_max3_f32 v22, |v116|, |v118|, v22                        // 000000009440: D1D30316 045AED74
	v_max3_f32 v23, |v117|, |v119|, v23                        // 000000009448: D1D30317 045EEF75
	v_max3_f32 v22, |v120|, |v122|, v22                        // 000000009450: D1D30316 045AF578
	v_max3_f32 v23, |v121|, |v123|, v23                        // 000000009458: D1D30317 045EF779
	v_max3_f32 v22, |v124|, |v126|, v22                        // 000000009460: D1D30316 045AFD7C
	v_max3_f32 v23, |v125|, |v127|, v23                        // 000000009468: D1D30317 045EFF7D
	v_rcp_f32_e32 v22, v22                                     // 000000009470: 7E2C4516
	v_rcp_f32_e32 v23, v23                                     // 000000009474: 7E2E4517
	v_mul_f32_e32 v22, 0x42fe0000, v22                         // 000000009478: 0A2C2CFF 42FE0000
	v_mul_f32_e32 v23, 0x42fe0000, v23                         // 000000009480: 0A2E2EFF 42FE0000
	v_mul_f32_e32 v128, v22, v128                              // 000000009488: 0B010116
	v_mul_f32_e32 v129, v22, v129                              // 00000000948C: 0B030316
	v_mul_f32_e32 v130, v22, v130                              // 000000009490: 0B050516
	v_mul_f32_e32 v131, v22, v131                              // 000000009494: 0B070716
	v_cvt_i32_f32_e32 v128, v128                               // 000000009498: 7F001180
	v_cvt_i32_f32_e32 v129, v129                               // 00000000949C: 7F021181
	v_cvt_i32_f32_e32 v130, v130                               // 0000000094A0: 7F041182
	v_cvt_i32_f32_e32 v131, v131                               // 0000000094A4: 7F061183
	v_perm_b32 v128, v129, v128, s53                           // 0000000094A8: D1ED0080 00D70181
	v_perm_b32 v128, v130, v128, s54                           // 0000000094B0: D1ED0080 00DB0182
	v_perm_b32 v128, v131, v128, s55                           // 0000000094B8: D1ED0080 00DF0183
	v_mul_f32_e32 v132, v23, v132                              // 0000000094C0: 0B090917
	v_mul_f32_e32 v133, v23, v133                              // 0000000094C4: 0B0B0B17
	v_mul_f32_e32 v134, v23, v134                              // 0000000094C8: 0B0D0D17
	v_mul_f32_e32 v135, v23, v135                              // 0000000094CC: 0B0F0F17
	v_cvt_i32_f32_e32 v132, v132                               // 0000000094D0: 7F081184
	v_cvt_i32_f32_e32 v133, v133                               // 0000000094D4: 7F0A1185
	v_cvt_i32_f32_e32 v134, v134                               // 0000000094D8: 7F0C1186
	v_cvt_i32_f32_e32 v135, v135                               // 0000000094DC: 7F0E1187
	v_perm_b32 v129, v133, v132, s53                           // 0000000094E0: D1ED0081 00D70985
	v_perm_b32 v129, v134, v129, s54                           // 0000000094E8: D1ED0081 00DB0386
	v_perm_b32 v129, v135, v129, s55                           // 0000000094F0: D1ED0081 00DF0387
	v_mul_f32_e32 v136, v22, v136                              // 0000000094F8: 0B111116
	v_mul_f32_e32 v137, v22, v137                              // 0000000094FC: 0B131316
	v_mul_f32_e32 v138, v22, v138                              // 000000009500: 0B151516
	v_mul_f32_e32 v139, v22, v139                              // 000000009504: 0B171716
	v_cvt_i32_f32_e32 v136, v136                               // 000000009508: 7F101188
	v_cvt_i32_f32_e32 v137, v137                               // 00000000950C: 7F121189
	v_cvt_i32_f32_e32 v138, v138                               // 000000009510: 7F14118A
	v_cvt_i32_f32_e32 v139, v139                               // 000000009514: 7F16118B
	v_perm_b32 v130, v137, v136, s53                           // 000000009518: D1ED0082 00D71189
	v_perm_b32 v130, v138, v130, s54                           // 000000009520: D1ED0082 00DB058A
	v_perm_b32 v130, v139, v130, s55                           // 000000009528: D1ED0082 00DF058B
	v_mul_f32_e32 v140, v23, v140                              // 000000009530: 0B191917
	v_mul_f32_e32 v141, v23, v141                              // 000000009534: 0B1B1B17
	v_mul_f32_e32 v142, v23, v142                              // 000000009538: 0B1D1D17
	v_mul_f32_e32 v143, v23, v143                              // 00000000953C: 0B1F1F17
	v_cvt_i32_f32_e32 v140, v140                               // 000000009540: 7F18118C
	v_cvt_i32_f32_e32 v141, v141                               // 000000009544: 7F1A118D
	v_cvt_i32_f32_e32 v142, v142                               // 000000009548: 7F1C118E
	v_cvt_i32_f32_e32 v143, v143                               // 00000000954C: 7F1E118F
	v_perm_b32 v131, v141, v140, s53                           // 000000009550: D1ED0083 00D7198D
	v_perm_b32 v131, v142, v131, s54                           // 000000009558: D1ED0083 00DB078E
	v_perm_b32 v131, v143, v131, s55                           // 000000009560: D1ED0083 00DF078F
	v_mul_f32_e32 v144, v22, v144                              // 000000009568: 0B212116
	v_mul_f32_e32 v145, v22, v145                              // 00000000956C: 0B232316
	v_mul_f32_e32 v146, v22, v146                              // 000000009570: 0B252516
	v_mul_f32_e32 v147, v22, v147                              // 000000009574: 0B272716
	v_cvt_i32_f32_e32 v144, v144                               // 000000009578: 7F201190
	v_cvt_i32_f32_e32 v145, v145                               // 00000000957C: 7F221191
	v_cvt_i32_f32_e32 v146, v146                               // 000000009580: 7F241192
	v_cvt_i32_f32_e32 v147, v147                               // 000000009584: 7F261193
	v_perm_b32 v132, v145, v144, s53                           // 000000009588: D1ED0084 00D72191
	v_perm_b32 v132, v146, v132, s54                           // 000000009590: D1ED0084 00DB0992
	v_perm_b32 v132, v147, v132, s55                           // 000000009598: D1ED0084 00DF0993
	v_mul_f32_e32 v148, v23, v148                              // 0000000095A0: 0B292917
	v_mul_f32_e32 v149, v23, v149                              // 0000000095A4: 0B2B2B17
	v_mul_f32_e32 v150, v23, v150                              // 0000000095A8: 0B2D2D17
	v_mul_f32_e32 v151, v23, v151                              // 0000000095AC: 0B2F2F17
	v_cvt_i32_f32_e32 v148, v148                               // 0000000095B0: 7F281194
	v_cvt_i32_f32_e32 v149, v149                               // 0000000095B4: 7F2A1195
	v_cvt_i32_f32_e32 v150, v150                               // 0000000095B8: 7F2C1196
	v_cvt_i32_f32_e32 v151, v151                               // 0000000095BC: 7F2E1197
	v_perm_b32 v133, v149, v148, s53                           // 0000000095C0: D1ED0085 00D72995
	v_perm_b32 v133, v150, v133, s54                           // 0000000095C8: D1ED0085 00DB0B96
	v_perm_b32 v133, v151, v133, s55                           // 0000000095D0: D1ED0085 00DF0B97
	v_mul_f32_e32 v152, v22, v152                              // 0000000095D8: 0B313116
	v_mul_f32_e32 v153, v22, v153                              // 0000000095DC: 0B333316
	v_mul_f32_e32 v154, v22, v154                              // 0000000095E0: 0B353516
	v_mul_f32_e32 v155, v22, v155                              // 0000000095E4: 0B373716
	v_cvt_i32_f32_e32 v152, v152                               // 0000000095E8: 7F301198
	v_cvt_i32_f32_e32 v153, v153                               // 0000000095EC: 7F321199
	v_cvt_i32_f32_e32 v154, v154                               // 0000000095F0: 7F34119A
	v_cvt_i32_f32_e32 v155, v155                               // 0000000095F4: 7F36119B
	v_perm_b32 v134, v153, v152, s53                           // 0000000095F8: D1ED0086 00D73199
	v_perm_b32 v134, v154, v134, s54                           // 000000009600: D1ED0086 00DB0D9A
	v_perm_b32 v134, v155, v134, s55                           // 000000009608: D1ED0086 00DF0D9B
	v_mul_f32_e32 v156, v23, v156                              // 000000009610: 0B393917
	v_mul_f32_e32 v157, v23, v157                              // 000000009614: 0B3B3B17
	v_mul_f32_e32 v158, v23, v158                              // 000000009618: 0B3D3D17
	v_mul_f32_e32 v159, v23, v159                              // 00000000961C: 0B3F3F17
	v_cvt_i32_f32_e32 v156, v156                               // 000000009620: 7F38119C
	v_cvt_i32_f32_e32 v157, v157                               // 000000009624: 7F3A119D
	v_cvt_i32_f32_e32 v158, v158                               // 000000009628: 7F3C119E
	v_cvt_i32_f32_e32 v159, v159                               // 00000000962C: 7F3E119F
	v_perm_b32 v135, v157, v156, s53                           // 000000009630: D1ED0087 00D7399D
	v_perm_b32 v135, v158, v135, s54                           // 000000009638: D1ED0087 00DB0F9E
	v_perm_b32 v135, v159, v135, s55                           // 000000009640: D1ED0087 00DF0F9F
	v_mul_f32_e32 v160, v22, v160                              // 000000009648: 0B414116
	v_mul_f32_e32 v161, v22, v161                              // 00000000964C: 0B434316
	v_mul_f32_e32 v162, v22, v162                              // 000000009650: 0B454516
	v_mul_f32_e32 v163, v22, v163                              // 000000009654: 0B474716
	v_cvt_i32_f32_e32 v160, v160                               // 000000009658: 7F4011A0
	v_cvt_i32_f32_e32 v161, v161                               // 00000000965C: 7F4211A1
	v_cvt_i32_f32_e32 v162, v162                               // 000000009660: 7F4411A2
	v_cvt_i32_f32_e32 v163, v163                               // 000000009664: 7F4611A3
	v_perm_b32 v136, v161, v160, s53                           // 000000009668: D1ED0088 00D741A1
	v_perm_b32 v136, v162, v136, s54                           // 000000009670: D1ED0088 00DB11A2
	v_perm_b32 v136, v163, v136, s55                           // 000000009678: D1ED0088 00DF11A3
	v_mul_f32_e32 v164, v23, v164                              // 000000009680: 0B494917
	v_mul_f32_e32 v165, v23, v165                              // 000000009684: 0B4B4B17
	v_mul_f32_e32 v166, v23, v166                              // 000000009688: 0B4D4D17
	v_mul_f32_e32 v167, v23, v167                              // 00000000968C: 0B4F4F17
	v_cvt_i32_f32_e32 v164, v164                               // 000000009690: 7F4811A4
	v_cvt_i32_f32_e32 v165, v165                               // 000000009694: 7F4A11A5
	v_cvt_i32_f32_e32 v166, v166                               // 000000009698: 7F4C11A6
	v_cvt_i32_f32_e32 v167, v167                               // 00000000969C: 7F4E11A7
	v_perm_b32 v137, v165, v164, s53                           // 0000000096A0: D1ED0089 00D749A5
	v_perm_b32 v137, v166, v137, s54                           // 0000000096A8: D1ED0089 00DB13A6
	v_perm_b32 v137, v167, v137, s55                           // 0000000096B0: D1ED0089 00DF13A7
	v_mul_f32_e32 v168, v22, v168                              // 0000000096B8: 0B515116
	v_mul_f32_e32 v169, v22, v169                              // 0000000096BC: 0B535316
	v_mul_f32_e32 v170, v22, v170                              // 0000000096C0: 0B555516
	v_mul_f32_e32 v171, v22, v171                              // 0000000096C4: 0B575716
	v_cvt_i32_f32_e32 v168, v168                               // 0000000096C8: 7F5011A8
	v_cvt_i32_f32_e32 v169, v169                               // 0000000096CC: 7F5211A9
	v_cvt_i32_f32_e32 v170, v170                               // 0000000096D0: 7F5411AA
	v_cvt_i32_f32_e32 v171, v171                               // 0000000096D4: 7F5611AB
	v_perm_b32 v138, v169, v168, s53                           // 0000000096D8: D1ED008A 00D751A9
	v_perm_b32 v138, v170, v138, s54                           // 0000000096E0: D1ED008A 00DB15AA
	v_perm_b32 v138, v171, v138, s55                           // 0000000096E8: D1ED008A 00DF15AB
	v_mul_f32_e32 v172, v23, v172                              // 0000000096F0: 0B595917
	v_mul_f32_e32 v173, v23, v173                              // 0000000096F4: 0B5B5B17
	v_mul_f32_e32 v174, v23, v174                              // 0000000096F8: 0B5D5D17
	v_mul_f32_e32 v175, v23, v175                              // 0000000096FC: 0B5F5F17
	v_cvt_i32_f32_e32 v172, v172                               // 000000009700: 7F5811AC
	v_cvt_i32_f32_e32 v173, v173                               // 000000009704: 7F5A11AD
	v_cvt_i32_f32_e32 v174, v174                               // 000000009708: 7F5C11AE
	v_cvt_i32_f32_e32 v175, v175                               // 00000000970C: 7F5E11AF
	v_perm_b32 v139, v173, v172, s53                           // 000000009710: D1ED008B 00D759AD
	v_perm_b32 v139, v174, v139, s54                           // 000000009718: D1ED008B 00DB17AE
	v_perm_b32 v139, v175, v139, s55                           // 000000009720: D1ED008B 00DF17AF
	v_mul_f32_e32 v176, v22, v176                              // 000000009728: 0B616116
	v_mul_f32_e32 v177, v22, v177                              // 00000000972C: 0B636316
	v_mul_f32_e32 v178, v22, v178                              // 000000009730: 0B656516
	v_mul_f32_e32 v179, v22, v179                              // 000000009734: 0B676716
	v_cvt_i32_f32_e32 v176, v176                               // 000000009738: 7F6011B0
	v_cvt_i32_f32_e32 v177, v177                               // 00000000973C: 7F6211B1
	v_cvt_i32_f32_e32 v178, v178                               // 000000009740: 7F6411B2
	v_cvt_i32_f32_e32 v179, v179                               // 000000009744: 7F6611B3
	v_perm_b32 v140, v177, v176, s53                           // 000000009748: D1ED008C 00D761B1
	v_perm_b32 v140, v178, v140, s54                           // 000000009750: D1ED008C 00DB19B2
	v_perm_b32 v140, v179, v140, s55                           // 000000009758: D1ED008C 00DF19B3
	v_mul_f32_e32 v180, v23, v180                              // 000000009760: 0B696917
	v_mul_f32_e32 v181, v23, v181                              // 000000009764: 0B6B6B17
	v_mul_f32_e32 v182, v23, v182                              // 000000009768: 0B6D6D17
	v_mul_f32_e32 v183, v23, v183                              // 00000000976C: 0B6F6F17
	v_cvt_i32_f32_e32 v180, v180                               // 000000009770: 7F6811B4
	v_cvt_i32_f32_e32 v181, v181                               // 000000009774: 7F6A11B5
	v_cvt_i32_f32_e32 v182, v182                               // 000000009778: 7F6C11B6
	v_cvt_i32_f32_e32 v183, v183                               // 00000000977C: 7F6E11B7
	v_perm_b32 v141, v181, v180, s53                           // 000000009780: D1ED008D 00D769B5
	v_perm_b32 v141, v182, v141, s54                           // 000000009788: D1ED008D 00DB1BB6
	v_perm_b32 v141, v183, v141, s55                           // 000000009790: D1ED008D 00DF1BB7
	v_mul_f32_e32 v184, v22, v184                              // 000000009798: 0B717116
	v_mul_f32_e32 v185, v22, v185                              // 00000000979C: 0B737316
	v_mul_f32_e32 v186, v22, v186                              // 0000000097A0: 0B757516
	v_mul_f32_e32 v187, v22, v187                              // 0000000097A4: 0B777716
	v_cvt_i32_f32_e32 v184, v184                               // 0000000097A8: 7F7011B8
	v_cvt_i32_f32_e32 v185, v185                               // 0000000097AC: 7F7211B9
	v_cvt_i32_f32_e32 v186, v186                               // 0000000097B0: 7F7411BA
	v_cvt_i32_f32_e32 v187, v187                               // 0000000097B4: 7F7611BB
	v_perm_b32 v142, v185, v184, s53                           // 0000000097B8: D1ED008E 00D771B9
	v_perm_b32 v142, v186, v142, s54                           // 0000000097C0: D1ED008E 00DB1DBA
	v_perm_b32 v142, v187, v142, s55                           // 0000000097C8: D1ED008E 00DF1DBB
	v_mul_f32_e32 v188, v23, v188                              // 0000000097D0: 0B797917
	v_mul_f32_e32 v189, v23, v189                              // 0000000097D4: 0B7B7B17
	v_mul_f32_e32 v190, v23, v190                              // 0000000097D8: 0B7D7D17
	v_mul_f32_e32 v191, v23, v191                              // 0000000097DC: 0B7F7F17
	v_cvt_i32_f32_e32 v188, v188                               // 0000000097E0: 7F7811BC
	v_cvt_i32_f32_e32 v189, v189                               // 0000000097E4: 7F7A11BD
	v_cvt_i32_f32_e32 v190, v190                               // 0000000097E8: 7F7C11BE
	v_cvt_i32_f32_e32 v191, v191                               // 0000000097EC: 7F7E11BF
	v_perm_b32 v143, v189, v188, s53                           // 0000000097F0: D1ED008F 00D779BD
	v_perm_b32 v143, v190, v143, s54                           // 0000000097F8: D1ED008F 00DB1FBE
	v_perm_b32 v143, v191, v143, s55                           // 000000009800: D1ED008F 00DF1FBF
	v_rcp_f32_e32 v24, v22                                     // 000000009808: 7E304516
	v_rcp_f32_e32 v25, v23                                     // 00000000980C: 7E324517
	v_lshrrev_b32_e32 v54, 5, v0                               // 000000009810: 206C0085
	v_lshlrev_b32_e32 v55, 5, v54                              // 000000009814: 246E6C85
	v_and_b32_e32 v54, 31, v0                                  // 000000009818: 266C009F
	v_lshrrev_b32_e32 v56, 4, v54                              // 00000000981C: 20706C84
	v_add_u32_e32 v55, v56, v55                                // 000000009820: 686E6F38
	v_and_b32_e32 v54, 15, v0                                  // 000000009824: 266C008F
	v_lshlrev_b32_e32 v54, 1, v54                              // 000000009828: 246C6C81
	v_add_u32_e32 v55, v54, v55                                // 00000000982C: 686E6F36
	v_lshlrev_b32_e32 v54, 2, v55                              // 000000009830: 246C6E82
	s_mul_i32 s60, 0x100, s5                                   // 000000009834: 923C05FF 00000100
	v_add_u32_e64 v54, v54, s60                                // 00000000983C: D1340036 00007936
	ds_write_b32 v54, v128 offset:18688                        // 000000009844: D81A4900 00008036
	ds_write_b32 v54, v129 offset:26880                        // 00000000984C: D81A6900 00008136
	ds_write_b32 v54, v130 offset:19712                        // 000000009854: D81A4D00 00008236
	ds_write_b32 v54, v131 offset:27904                        // 00000000985C: D81A6D00 00008336
	ds_write_b32 v54, v132 offset:20736                        // 000000009864: D81A5100 00008436
	ds_write_b32 v54, v133 offset:28928                        // 00000000986C: D81A7100 00008536
	ds_write_b32 v54, v134 offset:21760                        // 000000009874: D81A5500 00008636
	ds_write_b32 v54, v135 offset:29952                        // 00000000987C: D81A7500 00008736
	ds_write_b32 v54, v136 offset:22784                        // 000000009884: D81A5900 00008836
	ds_write_b32 v54, v137 offset:30976                        // 00000000988C: D81A7900 00008936
	ds_write_b32 v54, v138 offset:23808                        // 000000009894: D81A5D00 00008A36
	ds_write_b32 v54, v139 offset:32000                        // 00000000989C: D81A7D00 00008B36
	ds_write_b32 v54, v140 offset:24832                        // 0000000098A4: D81A6100 00008C36
	ds_write_b32 v54, v141 offset:33024                        // 0000000098AC: D81A8100 00008D36
	ds_write_b32 v54, v142 offset:25856                        // 0000000098B4: D81A6500 00008E36
	ds_write_b32 v54, v143 offset:34048                        // 0000000098BC: D81A8500 00008F36
	s_waitcnt lgkmcnt(0)                                       // 0000000098C4: BF8CC07F
	s_barrier                                                  // 0000000098C8: BF8A0000
	v_lshrrev_b32_e32 v54, 4, v0                               // 0000000098CC: 206C0084
	v_lshlrev_b32_e32 v55, 6, v54                              // 0000000098D0: 246E6C86
	v_and_b32_e32 v54, 15, v0                                  // 0000000098D4: 266C008F
	v_lshlrev_b32_e32 v54, 1, v54                              // 0000000098D8: 246C6C81
	v_add_u32_e32 v55, v54, v55                                // 0000000098DC: 686E6F36
	v_lshlrev_b32_e32 v54, 2, v55                              // 0000000098E0: 246C6E82
	ds_read_b64 v[128:129], v54 offset:18688                   // 0000000098E4: D8EC4900 80000036
	ds_read_b64 v[130:131], v54 offset:18816                   // 0000000098EC: D8EC4980 82000036
	ds_read_b64 v[132:133], v54 offset:19712                   // 0000000098F4: D8EC4D00 84000036
	ds_read_b64 v[134:135], v54 offset:19840                   // 0000000098FC: D8EC4D80 86000036
	ds_read_b64 v[136:137], v54 offset:20736                   // 000000009904: D8EC5100 88000036
	ds_read_b64 v[138:139], v54 offset:20864                   // 00000000990C: D8EC5180 8A000036
	ds_read_b64 v[140:141], v54 offset:21760                   // 000000009914: D8EC5500 8C000036
	ds_read_b64 v[142:143], v54 offset:21888                   // 00000000991C: D8EC5580 8E000036
	ds_read_b64 v[144:145], v54 offset:22784                   // 000000009924: D8EC5900 90000036
	ds_read_b64 v[146:147], v54 offset:22912                   // 00000000992C: D8EC5980 92000036
	ds_read_b64 v[148:149], v54 offset:23808                   // 000000009934: D8EC5D00 94000036
	ds_read_b64 v[150:151], v54 offset:23936                   // 00000000993C: D8EC5D80 96000036
	ds_read_b64 v[152:153], v54 offset:24832                   // 000000009944: D8EC6100 98000036
	ds_read_b64 v[154:155], v54 offset:24960                   // 00000000994C: D8EC6180 9A000036
	ds_read_b64 v[156:157], v54 offset:25856                   // 000000009954: D8EC6500 9C000036
	ds_read_b64 v[158:159], v54 offset:25984                   // 00000000995C: D8EC6580 9E000036
	ds_read_b64 v[160:161], v54 offset:26880                   // 000000009964: D8EC6900 A0000036
	ds_read_b64 v[162:163], v54 offset:27008                   // 00000000996C: D8EC6980 A2000036
	ds_read_b64 v[164:165], v54 offset:27904                   // 000000009974: D8EC6D00 A4000036
	ds_read_b64 v[166:167], v54 offset:28032                   // 00000000997C: D8EC6D80 A6000036
	ds_read_b64 v[168:169], v54 offset:28928                   // 000000009984: D8EC7100 A8000036
	ds_read_b64 v[170:171], v54 offset:29056                   // 00000000998C: D8EC7180 AA000036
	ds_read_b64 v[172:173], v54 offset:29952                   // 000000009994: D8EC7500 AC000036
	ds_read_b64 v[174:175], v54 offset:30080                   // 00000000999C: D8EC7580 AE000036
	ds_read_b64 v[176:177], v54 offset:30976                   // 0000000099A4: D8EC7900 B0000036
	ds_read_b64 v[178:179], v54 offset:31104                   // 0000000099AC: D8EC7980 B2000036
	ds_read_b64 v[180:181], v54 offset:32000                   // 0000000099B4: D8EC7D00 B4000036
	ds_read_b64 v[182:183], v54 offset:32128                   // 0000000099BC: D8EC7D80 B6000036
	ds_read_b64 v[184:185], v54 offset:33024                   // 0000000099C4: D8EC8100 B8000036
	ds_read_b64 v[186:187], v54 offset:33152                   // 0000000099CC: D8EC8180 BA000036
	ds_read_b64 v[188:189], v54 offset:34048                   // 0000000099D4: D8EC8500 BC000036
	ds_read_b64 v[190:191], v54 offset:34176                   // 0000000099DC: D8EC8580 BE000036
	s_add_u32 s12, s56, s12                                    // 0000000099E4: 800C0C38
	s_addc_u32 s13, 0, s13                                     // 0000000099E8: 820D0D80
	s_add_u32 s16, s79, s16                                    // 0000000099EC: 8010104F
	s_addc_u32 s17, 0, s17                                     // 0000000099F0: 82111180
	s_waitcnt lgkmcnt(0)                                       // 0000000099F4: BF8CC07F
	s_barrier                                                  // 0000000099F8: BF8A0000
	v_mov_b32_e32 v192, 0                                      // 0000000099FC: 7F800280
	v_mov_b32_e32 v224, 0                                      // 000000009A00: 7FC00280
	v_mov_b32_e32 v193, 0                                      // 000000009A04: 7F820280
	v_mov_b32_e32 v225, 0                                      // 000000009A08: 7FC20280
	v_mov_b32_e32 v194, 0                                      // 000000009A0C: 7F840280
	v_mov_b32_e32 v226, 0                                      // 000000009A10: 7FC40280
	v_mov_b32_e32 v195, 0                                      // 000000009A14: 7F860280
	v_mov_b32_e32 v227, 0                                      // 000000009A18: 7FC60280
	v_mov_b32_e32 v196, 0                                      // 000000009A1C: 7F880280
	v_mov_b32_e32 v228, 0                                      // 000000009A20: 7FC80280
	v_mov_b32_e32 v197, 0                                      // 000000009A24: 7F8A0280
	v_mov_b32_e32 v229, 0                                      // 000000009A28: 7FCA0280
	v_mov_b32_e32 v198, 0                                      // 000000009A2C: 7F8C0280
	v_mov_b32_e32 v230, 0                                      // 000000009A30: 7FCC0280
	v_mov_b32_e32 v199, 0                                      // 000000009A34: 7F8E0280
	v_mov_b32_e32 v231, 0                                      // 000000009A38: 7FCE0280
	v_mov_b32_e32 v200, 0                                      // 000000009A3C: 7F900280
	v_mov_b32_e32 v232, 0                                      // 000000009A40: 7FD00280
	v_mov_b32_e32 v201, 0                                      // 000000009A44: 7F920280
	v_mov_b32_e32 v233, 0                                      // 000000009A48: 7FD20280
	v_mov_b32_e32 v202, 0                                      // 000000009A4C: 7F940280
	v_mov_b32_e32 v234, 0                                      // 000000009A50: 7FD40280
	v_mov_b32_e32 v203, 0                                      // 000000009A54: 7F960280
	v_mov_b32_e32 v235, 0                                      // 000000009A58: 7FD60280
	v_mov_b32_e32 v204, 0                                      // 000000009A5C: 7F980280
	v_mov_b32_e32 v236, 0                                      // 000000009A60: 7FD80280
	v_mov_b32_e32 v205, 0                                      // 000000009A64: 7F9A0280
	v_mov_b32_e32 v237, 0                                      // 000000009A68: 7FDA0280
	v_mov_b32_e32 v206, 0                                      // 000000009A6C: 7F9C0280
	v_mov_b32_e32 v238, 0                                      // 000000009A70: 7FDC0280
	v_mov_b32_e32 v207, 0                                      // 000000009A74: 7F9E0280
	v_mov_b32_e32 v239, 0                                      // 000000009A78: 7FDE0280
	ds_write_b64 v3, v[192:193] offset:18688                   // 000000009A7C: D89A4900 0000C003
	ds_write_b64 v3, v[194:195] offset:27392                   // 000000009A84: D89A6B00 0000C203
	ds_write_b64 v3, v[196:197] offset:20864                   // 000000009A8C: D89A5180 0000C403
	ds_write_b64 v3, v[198:199] offset:29568                   // 000000009A94: D89A7380 0000C603
	ds_write_b64 v3, v[200:201] offset:23040                   // 000000009A9C: D89A5A00 0000C803
	ds_write_b64 v3, v[202:203] offset:31744                   // 000000009AA4: D89A7C00 0000CA03
	ds_write_b64 v3, v[204:205] offset:25216                   // 000000009AAC: D89A6280 0000CC03
	ds_write_b64 v3, v[206:207] offset:33920                   // 000000009AB4: D89A8480 0000CE03
	s_mov_b32 s80, 0                                           // 000000009ABC: BED00080
	s_waitcnt vmcnt(0) expcnt(0) lgkmcnt(0)                    // 000000009AC0: BF8C0000

0000000000009ac4 <label_1BF1>:
	s_waitcnt vmcnt(25) lgkmcnt(0)                             // 000000009AC4: BF8C4079
	s_barrier                                                  // 000000009AC8: BF8A0000
	v_mfma_i32_16x16x32_i8 v[192:195], a[0:1], v[128:129], 0   // 000000009ACC: D3D700C0 0A030100
	buffer_load_dwordx4 a[128:131], v42, s[12:15], 0 offen     // 000000009AD4: E05C1000 8083802A
	v_mfma_i32_16x16x32_i8 v[192:195], a[2:3], v[130:131], v[192:195]// 000000009ADC: D3D700C0 0F030502
	ds_read_b32 v64, v4 offset:18688                           // 000000009AE4: D86C4900 40000004
	ds_read_b32 v65, v4 offset:23040                           // 000000009AEC: D86C5A00 41000004
	v_mfma_i32_16x16x32_i8 v[192:195], a[4:5], v[132:133], v[192:195]// 000000009AF4: D3D700C0 0F030904
	v_mfma_i32_16x16x32_i8 v[192:195], a[6:7], v[134:135], v[192:195]// 000000009AFC: D3D700C0 0F030D06
	ds_read_b32 v66, v4 offset:18720                           // 000000009B04: D86C4920 42000004
	ds_read_b32 v67, v4 offset:23072                           // 000000009B0C: D86C5A20 43000004
	v_mfma_i32_16x16x32_i8 v[192:195], a[8:9], v[136:137], v[192:195]// 000000009B14: D3D700C0 0F031108
	buffer_load_dwordx4 a[132:135], v42, s[12:15], 0 offen offset:1024// 000000009B1C: E05C1400 8083842A
	v_mfma_i32_16x16x32_i8 v[192:195], a[10:11], v[138:139], v[192:195]// 000000009B24: D3D700C0 0F03150A
	ds_read_b32 v68, v4 offset:18752                           // 000000009B2C: D86C4940 44000004
	ds_read_b32 v69, v4 offset:23104                           // 000000009B34: D86C5A40 45000004
	v_mfma_i32_16x16x32_i8 v[192:195], a[12:13], v[140:141], v[192:195]// 000000009B3C: D3D700C0 0F03190C
	v_mfma_i32_16x16x32_i8 v[192:195], a[14:15], v[142:143], v[192:195]// 000000009B44: D3D700C0 0F031D0E
	ds_read_b32 v70, v4 offset:18784                           // 000000009B4C: D86C4960 46000004
	ds_read_b32 v71, v4 offset:23136                           // 000000009B54: D86C5A60 47000004
	v_mfma_i32_16x16x32_i8 v[196:199], a[0:1], v[160:161], 0   // 000000009B5C: D3D700C4 0A034100
	buffer_load_dwordx4 a[136:139], v42, s[12:15], 0 offen offset:2048// 000000009B64: E05C1800 8083882A
	v_mfma_i32_16x16x32_i8 v[196:199], a[2:3], v[162:163], v[196:199]// 000000009B6C: D3D700C4 0F134502
	ds_read_b32 v72, v4 offset:27392                           // 000000009B74: D86C6B00 48000004
	ds_read_b32 v73, v4 offset:31744                           // 000000009B7C: D86C7C00 49000004
	v_mfma_i32_16x16x32_i8 v[196:199], a[4:5], v[164:165], v[196:199]// 000000009B84: D3D700C4 0F134904
	v_mfma_i32_16x16x32_i8 v[196:199], a[6:7], v[166:167], v[196:199]// 000000009B8C: D3D700C4 0F134D06
	ds_read_b32 v74, v4 offset:27424                           // 000000009B94: D86C6B20 4A000004
	ds_read_b32 v75, v4 offset:31776                           // 000000009B9C: D86C7C20 4B000004
	v_mfma_i32_16x16x32_i8 v[196:199], a[8:9], v[168:169], v[196:199]// 000000009BA4: D3D700C4 0F135108
	buffer_load_dwordx4 a[140:143], v42, s[12:15], 0 offen offset:3072// 000000009BAC: E05C1C00 80838C2A
	v_mfma_i32_16x16x32_i8 v[196:199], a[10:11], v[170:171], v[196:199]// 000000009BB4: D3D700C4 0F13550A
	ds_read_b32 v76, v4 offset:27456                           // 000000009BBC: D86C6B40 4C000004
	ds_read_b32 v77, v4 offset:31808                           // 000000009BC4: D86C7C40 4D000004
	v_mfma_i32_16x16x32_i8 v[196:199], a[12:13], v[172:173], v[196:199]// 000000009BCC: D3D700C4 0F13590C
	v_mfma_i32_16x16x32_i8 v[196:199], a[14:15], v[174:175], v[196:199]// 000000009BD4: D3D700C4 0F135D0E
	ds_read_b32 v78, v4 offset:27488                           // 000000009BDC: D86C6B60 4E000004
	ds_read_b32 v79, v4 offset:31840                           // 000000009BE4: D86C7C60 4F000004
	v_mfma_i32_16x16x32_i8 v[200:203], a[16:17], v[128:129], 0 // 000000009BEC: D3D700C8 0A030110
	buffer_load_dwordx4 a[144:147], v43, s[12:15], 0 offen     // 000000009BF4: E05C1000 8083902B
	v_mfma_i32_16x16x32_i8 v[200:203], a[18:19], v[130:131], v[200:203]// 000000009BFC: D3D700C8 0F230512
	v_mfma_i32_16x16x32_i8 v[200:203], a[20:21], v[132:133], v[200:203]// 000000009C04: D3D700C8 0F230914
	v_mfma_i32_16x16x32_i8 v[200:203], a[22:23], v[134:135], v[200:203]// 000000009C0C: D3D700C8 0F230D16
	v_mfma_i32_16x16x32_i8 v[200:203], a[24:25], v[136:137], v[200:203]// 000000009C14: D3D700C8 0F231118
	buffer_load_dwordx4 a[148:151], v43, s[12:15], 0 offen offset:1024// 000000009C1C: E05C1400 8083942B
	v_mfma_i32_16x16x32_i8 v[200:203], a[26:27], v[138:139], v[200:203]// 000000009C24: D3D700C8 0F23151A
	v_mfma_i32_16x16x32_i8 v[200:203], a[28:29], v[140:141], v[200:203]// 000000009C2C: D3D700C8 0F23191C
	v_mfma_i32_16x16x32_i8 v[200:203], a[30:31], v[142:143], v[200:203]// 000000009C34: D3D700C8 0F231D1E
	v_mfma_i32_16x16x32_i8 v[204:207], a[16:17], v[160:161], 0 // 000000009C3C: D3D700CC 0A034110
	buffer_load_dwordx4 a[152:155], v43, s[12:15], 0 offen offset:2048// 000000009C44: E05C1800 8083982B
	v_mfma_i32_16x16x32_i8 v[204:207], a[18:19], v[162:163], v[204:207]// 000000009C4C: D3D700CC 0F334512
	v_mfma_i32_16x16x32_i8 v[204:207], a[20:21], v[164:165], v[204:207]// 000000009C54: D3D700CC 0F334914
	v_mfma_i32_16x16x32_i8 v[204:207], a[22:23], v[166:167], v[204:207]// 000000009C5C: D3D700CC 0F334D16
	v_mfma_i32_16x16x32_i8 v[204:207], a[24:25], v[168:169], v[204:207]// 000000009C64: D3D700CC 0F335118
	buffer_load_dwordx4 a[156:159], v43, s[12:15], 0 offen offset:3072// 000000009C6C: E05C1C00 80839C2B
	v_mfma_i32_16x16x32_i8 v[204:207], a[26:27], v[170:171], v[204:207]// 000000009C74: D3D700CC 0F33551A
	v_mfma_i32_16x16x32_i8 v[204:207], a[28:29], v[172:173], v[204:207]// 000000009C7C: D3D700CC 0F33591C
	v_mfma_i32_16x16x32_i8 v[204:207], a[30:31], v[174:175], v[204:207]// 000000009C84: D3D700CC 0F335D1E
	s_waitcnt vmcnt(25)                                        // 000000009C8C: BF8C4F79
	v_mfma_i32_16x16x32_i8 v[208:211], a[32:33], v[128:129], 0 // 000000009C90: D3D700D0 0A030120
	buffer_load_dwordx4 a[160:163], v44, s[12:15], 0 offen     // 000000009C98: E05C1000 8083A02C
	v_mfma_i32_16x16x32_i8 v[208:211], a[34:35], v[130:131], v[208:211]// 000000009CA0: D3D700D0 0F430522
	v_mfma_i32_16x16x32_i8 v[208:211], a[36:37], v[132:133], v[208:211]// 000000009CA8: D3D700D0 0F430924
	v_mfma_i32_16x16x32_i8 v[208:211], a[38:39], v[134:135], v[208:211]// 000000009CB0: D3D700D0 0F430D26
	v_mfma_i32_16x16x32_i8 v[208:211], a[40:41], v[136:137], v[208:211]// 000000009CB8: D3D700D0 0F431128
	buffer_load_dwordx4 a[164:167], v44, s[12:15], 0 offen offset:1024// 000000009CC0: E05C1400 8083A42C
	v_mfma_i32_16x16x32_i8 v[208:211], a[42:43], v[138:139], v[208:211]// 000000009CC8: D3D700D0 0F43152A
	v_mfma_i32_16x16x32_i8 v[208:211], a[44:45], v[140:141], v[208:211]// 000000009CD0: D3D700D0 0F43192C
	v_mfma_i32_16x16x32_i8 v[208:211], a[46:47], v[142:143], v[208:211]// 000000009CD8: D3D700D0 0F431D2E
	v_mfma_i32_16x16x32_i8 v[212:215], a[32:33], v[160:161], 0 // 000000009CE0: D3D700D4 0A034120
	buffer_load_dwordx4 a[168:171], v44, s[12:15], 0 offen offset:2048// 000000009CE8: E05C1800 8083A82C
	v_mfma_i32_16x16x32_i8 v[212:215], a[34:35], v[162:163], v[212:215]// 000000009CF0: D3D700D4 0F534522
	v_mfma_i32_16x16x32_i8 v[212:215], a[36:37], v[164:165], v[212:215]// 000000009CF8: D3D700D4 0F534924
	v_mfma_i32_16x16x32_i8 v[212:215], a[38:39], v[166:167], v[212:215]// 000000009D00: D3D700D4 0F534D26
	v_mfma_i32_16x16x32_i8 v[212:215], a[40:41], v[168:169], v[212:215]// 000000009D08: D3D700D4 0F535128
	buffer_load_dwordx4 a[172:175], v44, s[12:15], 0 offen offset:3072// 000000009D10: E05C1C00 8083AC2C
	v_mfma_i32_16x16x32_i8 v[212:215], a[42:43], v[170:171], v[212:215]// 000000009D18: D3D700D4 0F53552A
	v_mfma_i32_16x16x32_i8 v[212:215], a[44:45], v[172:173], v[212:215]// 000000009D20: D3D700D4 0F53592C
	v_mfma_i32_16x16x32_i8 v[212:215], a[46:47], v[174:175], v[212:215]// 000000009D28: D3D700D4 0F535D2E
	v_mfma_i32_16x16x32_i8 v[216:219], a[48:49], v[128:129], 0 // 000000009D30: D3D700D8 0A030130
	buffer_load_dwordx4 a[176:179], v45, s[12:15], 0 offen     // 000000009D38: E05C1000 8083B02D
	v_mfma_i32_16x16x32_i8 v[216:219], a[50:51], v[130:131], v[216:219]// 000000009D40: D3D700D8 0F630532
	v_mfma_i32_16x16x32_i8 v[216:219], a[52:53], v[132:133], v[216:219]// 000000009D48: D3D700D8 0F630934
	v_mfma_i32_16x16x32_i8 v[216:219], a[54:55], v[134:135], v[216:219]// 000000009D50: D3D700D8 0F630D36
	v_mfma_i32_16x16x32_i8 v[216:219], a[56:57], v[136:137], v[216:219]// 000000009D58: D3D700D8 0F631138
	buffer_load_dwordx4 a[180:183], v45, s[12:15], 0 offen offset:1024// 000000009D60: E05C1400 8083B42D
	v_mfma_i32_16x16x32_i8 v[216:219], a[58:59], v[138:139], v[216:219]// 000000009D68: D3D700D8 0F63153A
	v_mfma_i32_16x16x32_i8 v[216:219], a[60:61], v[140:141], v[216:219]// 000000009D70: D3D700D8 0F63193C
	v_mfma_i32_16x16x32_i8 v[216:219], a[62:63], v[142:143], v[216:219]// 000000009D78: D3D700D8 0F631D3E
	v_mfma_i32_16x16x32_i8 v[220:223], a[48:49], v[160:161], 0 // 000000009D80: D3D700DC 0A034130
	buffer_load_dwordx4 a[184:187], v45, s[12:15], 0 offen offset:2048// 000000009D88: E05C1800 8083B82D
	v_mfma_i32_16x16x32_i8 v[220:223], a[50:51], v[162:163], v[220:223]// 000000009D90: D3D700DC 0F734532
	v_mfma_i32_16x16x32_i8 v[220:223], a[52:53], v[164:165], v[220:223]// 000000009D98: D3D700DC 0F734934
	v_mfma_i32_16x16x32_i8 v[220:223], a[54:55], v[166:167], v[220:223]// 000000009DA0: D3D700DC 0F734D36
	v_mfma_i32_16x16x32_i8 v[220:223], a[56:57], v[168:169], v[220:223]// 000000009DA8: D3D700DC 0F735138
	buffer_load_dwordx4 a[188:191], v45, s[12:15], 0 offen offset:3072// 000000009DB0: E05C1C00 8083BC2D
	s_add_u32 s12, s78, s12                                    // 000000009DB8: 800C0C4E
	s_addc_u32 s13, 0, s13                                     // 000000009DBC: 820D0D80
	v_mfma_i32_16x16x32_i8 v[220:223], a[58:59], v[170:171], v[220:223]// 000000009DC0: D3D700DC 0F73553A
	v_mfma_i32_16x16x32_i8 v[220:223], a[60:61], v[172:173], v[220:223]// 000000009DC8: D3D700DC 0F73593C
	v_mfma_i32_16x16x32_i8 v[220:223], a[62:63], v[174:175], v[220:223]// 000000009DD0: D3D700DC 0F735D3E
	s_waitcnt vmcnt(25)                                        // 000000009DD8: BF8C4F79
	v_mfma_i32_16x16x32_i8 v[192:195], a[64:65], v[144:145], v[192:195]// 000000009DDC: D3D700C0 0F032140
	buffer_load_dwordx4 a[192:195], v42, s[12:15], 0 offen     // 000000009DE4: E05C1000 8083C02A
	v_mfma_i32_16x16x32_i8 v[192:195], a[66:67], v[146:147], v[192:195]// 000000009DEC: D3D700C0 0F032542
	ds_write_b64 v3, v[224:225] offset:36096                   // 000000009DF4: D89A8D00 0000E003
	v_mfma_i32_16x16x32_i8 v[192:195], a[68:69], v[148:149], v[192:195]// 000000009DFC: D3D700C0 0F032944
	v_mfma_i32_16x16x32_i8 v[192:195], a[70:71], v[150:151], v[192:195]// 000000009E04: D3D700C0 0F032D46
	ds_write_b64 v3, v[226:227] offset:44800                   // 000000009E0C: D89AAF00 0000E203
	v_mfma_i32_16x16x32_i8 v[192:195], a[72:73], v[152:153], v[192:195]// 000000009E14: D3D700C0 0F033148
	buffer_load_dwordx4 a[196:199], v42, s[12:15], 0 offen offset:1024// 000000009E1C: E05C1400 8083C42A
	v_mfma_i32_16x16x32_i8 v[192:195], a[74:75], v[154:155], v[192:195]// 000000009E24: D3D700C0 0F03354A
	ds_write_b64 v3, v[228:229] offset:38272                   // 000000009E2C: D89A9580 0000E403
	v_mfma_i32_16x16x32_i8 v[192:195], a[76:77], v[156:157], v[192:195]// 000000009E34: D3D700C0 0F03394C
	v_mfma_i32_16x16x32_i8 v[192:195], a[78:79], v[158:159], v[192:195]// 000000009E3C: D3D700C0 0F033D4E
	ds_write_b64 v3, v[230:231] offset:46976                   // 000000009E44: D89AB780 0000E603
	v_mfma_i32_16x16x32_i8 v[196:199], a[64:65], v[176:177], v[196:199]// 000000009E4C: D3D700C4 0F136140
	buffer_load_dwordx4 a[200:203], v42, s[12:15], 0 offen offset:2048// 000000009E54: E05C1800 8083C82A
	v_mfma_i32_16x16x32_i8 v[196:199], a[66:67], v[178:179], v[196:199]// 000000009E5C: D3D700C4 0F136542
	ds_write_b64 v3, v[232:233] offset:40448                   // 000000009E64: D89A9E00 0000E803
	v_mfma_i32_16x16x32_i8 v[196:199], a[68:69], v[180:181], v[196:199]// 000000009E6C: D3D700C4 0F136944
	v_mfma_i32_16x16x32_i8 v[196:199], a[70:71], v[182:183], v[196:199]// 000000009E74: D3D700C4 0F136D46
	ds_write_b64 v3, v[234:235] offset:49152                   // 000000009E7C: D89AC000 0000EA03
	v_mfma_i32_16x16x32_i8 v[196:199], a[72:73], v[184:185], v[196:199]// 000000009E84: D3D700C4 0F137148
	buffer_load_dwordx4 a[204:207], v42, s[12:15], 0 offen offset:3072// 000000009E8C: E05C1C00 8083CC2A
	v_mfma_i32_16x16x32_i8 v[196:199], a[74:75], v[186:187], v[196:199]// 000000009E94: D3D700C4 0F13754A
	ds_write_b64 v3, v[236:237] offset:42624                   // 000000009E9C: D89AA680 0000EC03
	v_mfma_i32_16x16x32_i8 v[196:199], a[76:77], v[188:189], v[196:199]// 000000009EA4: D3D700C4 0F13794C
	v_mfma_i32_16x16x32_i8 v[196:199], a[78:79], v[190:191], v[196:199]// 000000009EAC: D3D700C4 0F137D4E
	ds_write_b64 v3, v[238:239] offset:51328                   // 000000009EB4: D89AC880 0000EE03
	v_mfma_i32_16x16x32_i8 v[200:203], a[80:81], v[144:145], v[200:203]// 000000009EBC: D3D700C8 0F232150
	buffer_load_dwordx4 a[208:211], v43, s[12:15], 0 offen     // 000000009EC4: E05C1000 8083D02B
	v_mfma_i32_16x16x32_i8 v[200:203], a[82:83], v[146:147], v[200:203]// 000000009ECC: D3D700C8 0F232552
	v_mfma_i32_16x16x32_i8 v[200:203], a[84:85], v[148:149], v[200:203]// 000000009ED4: D3D700C8 0F232954
	v_mfma_i32_16x16x32_i8 v[200:203], a[86:87], v[150:151], v[200:203]// 000000009EDC: D3D700C8 0F232D56
	v_mfma_i32_16x16x32_i8 v[200:203], a[88:89], v[152:153], v[200:203]// 000000009EE4: D3D700C8 0F233158
	buffer_load_dwordx4 a[212:215], v43, s[12:15], 0 offen offset:1024// 000000009EEC: E05C1400 8083D42B
	v_mfma_i32_16x16x32_i8 v[200:203], a[90:91], v[154:155], v[200:203]// 000000009EF4: D3D700C8 0F23355A
	v_mfma_i32_16x16x32_i8 v[200:203], a[92:93], v[156:157], v[200:203]// 000000009EFC: D3D700C8 0F23395C
	v_mfma_i32_16x16x32_i8 v[200:203], a[94:95], v[158:159], v[200:203]// 000000009F04: D3D700C8 0F233D5E
	v_mfma_i32_16x16x32_i8 v[204:207], a[80:81], v[176:177], v[204:207]// 000000009F0C: D3D700CC 0F336150
	buffer_load_dwordx4 a[216:219], v43, s[12:15], 0 offen offset:2048// 000000009F14: E05C1800 8083D82B
	v_mfma_i32_16x16x32_i8 v[204:207], a[82:83], v[178:179], v[204:207]// 000000009F1C: D3D700CC 0F336552
	v_mfma_i32_16x16x32_i8 v[204:207], a[84:85], v[180:181], v[204:207]// 000000009F24: D3D700CC 0F336954
	v_mfma_i32_16x16x32_i8 v[204:207], a[86:87], v[182:183], v[204:207]// 000000009F2C: D3D700CC 0F336D56
	v_mfma_i32_16x16x32_i8 v[204:207], a[88:89], v[184:185], v[204:207]// 000000009F34: D3D700CC 0F337158
	buffer_load_dwordx4 a[220:223], v43, s[12:15], 0 offen offset:3072// 000000009F3C: E05C1C00 8083DC2B
	v_mfma_i32_16x16x32_i8 v[204:207], a[90:91], v[186:187], v[204:207]// 000000009F44: D3D700CC 0F33755A
	v_mfma_i32_16x16x32_i8 v[204:207], a[92:93], v[188:189], v[204:207]// 000000009F4C: D3D700CC 0F33795C
	v_mfma_i32_16x16x32_i8 v[204:207], a[94:95], v[190:191], v[204:207]// 000000009F54: D3D700CC 0F337D5E
	s_waitcnt vmcnt(24)                                        // 000000009F5C: BF8C4F78
	v_mfma_i32_16x16x32_i8 v[208:211], a[96:97], v[144:145], v[208:211]// 000000009F60: D3D700D0 0F432160
	buffer_load_dwordx4 a[224:227], v44, s[12:15], 0 offen     // 000000009F68: E05C1000 8083E02C
	v_mfma_i32_16x16x32_i8 v[208:211], a[98:99], v[146:147], v[208:211]// 000000009F70: D3D700D0 0F432562
	v_mfma_i32_16x16x32_i8 v[208:211], a[100:101], v[148:149], v[208:211]// 000000009F78: D3D700D0 0F432964
	buffer_load_dword v13, v5, s[16:19], 0 offen               // 000000009F80: E0501000 80040D05
	v_mfma_i32_16x16x32_i8 v[208:211], a[102:103], v[150:151], v[208:211]// 000000009F88: D3D700D0 0F432D66
	v_mfma_i32_16x16x32_i8 v[208:211], a[104:105], v[152:153], v[208:211]// 000000009F90: D3D700D0 0F433168
	buffer_load_dwordx4 a[228:231], v44, s[12:15], 0 offen offset:1024// 000000009F98: E05C1400 8083E42C
	v_mfma_i32_16x16x32_i8 v[208:211], a[106:107], v[154:155], v[208:211]// 000000009FA0: D3D700D0 0F43356A
	v_mfma_i32_16x16x32_i8 v[208:211], a[108:109], v[156:157], v[208:211]// 000000009FA8: D3D700D0 0F43396C
	v_mfma_i32_16x16x32_i8 v[208:211], a[110:111], v[158:159], v[208:211]// 000000009FB0: D3D700D0 0F433D6E
	v_mfma_i32_16x16x32_i8 v[212:215], a[96:97], v[176:177], v[212:215]// 000000009FB8: D3D700D4 0F536160
	buffer_load_dwordx4 a[232:235], v44, s[12:15], 0 offen offset:2048// 000000009FC0: E05C1800 8083E82C
	v_mfma_i32_16x16x32_i8 v[212:215], a[98:99], v[178:179], v[212:215]// 000000009FC8: D3D700D4 0F536562
	v_mfma_i32_16x16x32_i8 v[212:215], a[100:101], v[180:181], v[212:215]// 000000009FD0: D3D700D4 0F536964
	s_add_u32 s60, 0x200, s80                                  // 000000009FD8: 803C50FF 00000200
	s_cmp_lt_u32 s60, s81                                      // 000000009FE0: BF0A513C
	v_mfma_i32_16x16x32_i8 v[212:215], a[102:103], v[182:183], v[212:215]// 000000009FE4: D3D700D4 0F536D66
	s_cselect_b32 s56, s56, 0                                  // 000000009FEC: 85388038
	s_cselect_b32 s78, s78, 0                                  // 000000009FF0: 854E804E
	s_cselect_b32 s79, s79, 0                                  // 000000009FF4: 854F804F
	v_mfma_i32_16x16x32_i8 v[212:215], a[104:105], v[184:185], v[212:215]// 000000009FF8: D3D700D4 0F537168
	buffer_load_dwordx4 a[236:239], v44, s[12:15], 0 offen offset:3072// 00000000A000: E05C1C00 8083EC2C
	v_mfma_i32_16x16x32_i8 v[212:215], a[106:107], v[186:187], v[212:215]// 00000000A008: D3D700D4 0F53756A
	v_mfma_i32_16x16x32_i8 v[212:215], a[108:109], v[188:189], v[212:215]// 00000000A010: D3D700D4 0F53796C
	s_add_u32 s16, s79, s16                                    // 00000000A018: 8010104F
	s_addc_u32 s17, 0, s17                                     // 00000000A01C: 82111180
	v_mfma_i32_16x16x32_i8 v[212:215], a[110:111], v[190:191], v[212:215]// 00000000A020: D3D700D4 0F537D6E
	v_mfma_i32_16x16x32_i8 v[216:219], a[112:113], v[144:145], v[216:219]// 00000000A028: D3D700D8 0F632170
	buffer_load_dwordx4 a[240:243], v45, s[12:15], 0 offen     // 00000000A030: E05C1000 8083F02D
	v_mfma_i32_16x16x32_i8 v[216:219], a[114:115], v[146:147], v[216:219]// 00000000A038: D3D700D8 0F632572
	v_mfma_i32_16x16x32_i8 v[216:219], a[116:117], v[148:149], v[216:219]// 00000000A040: D3D700D8 0F632974
	v_mfma_i32_16x16x32_i8 v[216:219], a[118:119], v[150:151], v[216:219]// 00000000A048: D3D700D8 0F632D76
	v_mfma_i32_16x16x32_i8 v[216:219], a[120:121], v[152:153], v[216:219]// 00000000A050: D3D700D8 0F633178
	buffer_load_dwordx4 a[244:247], v45, s[12:15], 0 offen offset:1024// 00000000A058: E05C1400 8083F42D
	v_mfma_i32_16x16x32_i8 v[216:219], a[122:123], v[154:155], v[216:219]// 00000000A060: D3D700D8 0F63357A
	v_mfma_i32_16x16x32_i8 v[216:219], a[124:125], v[156:157], v[216:219]// 00000000A068: D3D700D8 0F63397C
	v_mfma_i32_16x16x32_i8 v[216:219], a[126:127], v[158:159], v[216:219]// 00000000A070: D3D700D8 0F633D7E
	v_mfma_i32_16x16x32_i8 v[220:223], a[112:113], v[176:177], v[220:223]// 00000000A078: D3D700DC 0F736170
	buffer_load_dwordx4 a[248:251], v45, s[12:15], 0 offen offset:2048// 00000000A080: E05C1800 8083F82D
	v_mfma_i32_16x16x32_i8 v[220:223], a[114:115], v[178:179], v[220:223]// 00000000A088: D3D700DC 0F736572
	v_mfma_i32_16x16x32_i8 v[220:223], a[116:117], v[180:181], v[220:223]// 00000000A090: D3D700DC 0F736974
	v_mfma_i32_16x16x32_i8 v[220:223], a[118:119], v[182:183], v[220:223]// 00000000A098: D3D700DC 0F736D76
	v_mfma_i32_16x16x32_i8 v[220:223], a[120:121], v[184:185], v[220:223]// 00000000A0A0: D3D700DC 0F737178
	buffer_load_dwordx4 a[252:255], v45, s[12:15], 0 offen offset:3072// 00000000A0A8: E05C1C00 8083FC2D
	v_mfma_i32_16x16x32_i8 v[220:223], a[122:123], v[186:187], v[220:223]// 00000000A0B0: D3D700DC 0F73757A
	v_mfma_i32_16x16x32_i8 v[220:223], a[124:125], v[188:189], v[220:223]// 00000000A0B8: D3D700DC 0F73797C
	s_add_u32 s12, s56, s12                                    // 00000000A0C0: 800C0C38
	s_addc_u32 s13, 0, s13                                     // 00000000A0C4: 820D0D80
	v_mfma_i32_16x16x32_i8 v[220:223], a[126:127], v[190:191], v[220:223]// 00000000A0C8: D3D700DC 0F737D7E
	v_mov_b32_e32 v96, v24                                     // 00000000A0D0: 7EC00318
	v_mov_b32_e32 v100, v20                                    // 00000000A0D4: 7EC80314
	v_mov_b32_e32 v97, v24                                     // 00000000A0D8: 7EC20318
	v_mov_b32_e32 v101, v20                                    // 00000000A0DC: 7ECA0314
	v_mov_b32_e32 v98, v25                                     // 00000000A0E0: 7EC40319
	v_mov_b32_e32 v102, v21                                    // 00000000A0E4: 7ECC0315
	v_mov_b32_e32 v99, v25                                     // 00000000A0E8: 7EC60319
	v_mov_b32_e32 v103, v21                                    // 00000000A0EC: 7ECE0315
	v_cvt_f32_i32_e32 v192, v192                               // 00000000A0F0: 7F800BC0
	v_cvt_f32_i32_e32 v193, v193                               // 00000000A0F4: 7F820BC1
	v_cvt_f32_i32_e32 v194, v194                               // 00000000A0F8: 7F840BC2
	v_cvt_f32_i32_e32 v195, v195                               // 00000000A0FC: 7F860BC3
	v_pk_mul_f32 v[192:193], v[96:97], v[192:193]              // 00000000A100: D3B140C0 18038160
	v_pk_mul_f32 v[194:195], v[96:97], v[194:195]              // 00000000A108: D3B140C2 18038560
	v_mul_f32_dpp v192, v12, v192 row_newbcast:0 row_mask:0xf bank_mask:0xf// 00000000A110: 0B8180FA FF01500C
	v_mul_f32_dpp v193, v12, v193 row_newbcast:1 row_mask:0xf bank_mask:0xf// 00000000A118: 0B8382FA FF01510C
	v_mul_f32_dpp v194, v12, v194 row_newbcast:2 row_mask:0xf bank_mask:0xf// 00000000A120: 0B8584FA FF01520C
	v_mul_f32_dpp v195, v12, v195 row_newbcast:3 row_mask:0xf bank_mask:0xf// 00000000A128: 0B8786FA FF01530C
	v_pk_mul_f32 v[192:193], v[100:101], v[192:193]            // 00000000A130: D3B140C0 18038164
	v_pk_mul_f32 v[194:195], v[100:101], v[194:195]            // 00000000A138: D3B140C2 18038564
	v_cvt_f32_i32_e32 v196, v196                               // 00000000A140: 7F880BC4
	v_cvt_f32_i32_e32 v197, v197                               // 00000000A144: 7F8A0BC5
	v_cvt_f32_i32_e32 v198, v198                               // 00000000A148: 7F8C0BC6
	v_cvt_f32_i32_e32 v199, v199                               // 00000000A14C: 7F8E0BC7
	v_pk_mul_f32 v[196:197], v[98:99], v[196:197]              // 00000000A150: D3B140C4 18038962
	v_pk_mul_f32 v[198:199], v[98:99], v[198:199]              // 00000000A158: D3B140C6 18038D62
	v_mul_f32_dpp v196, v12, v196 row_newbcast:0 row_mask:0xf bank_mask:0xf// 00000000A160: 0B8988FA FF01500C
	v_mul_f32_dpp v197, v12, v197 row_newbcast:1 row_mask:0xf bank_mask:0xf// 00000000A168: 0B8B8AFA FF01510C
	v_mul_f32_dpp v198, v12, v198 row_newbcast:2 row_mask:0xf bank_mask:0xf// 00000000A170: 0B8D8CFA FF01520C
	v_mul_f32_dpp v199, v12, v199 row_newbcast:3 row_mask:0xf bank_mask:0xf// 00000000A178: 0B8F8EFA FF01530C
	v_pk_mul_f32 v[196:197], v[102:103], v[196:197]            // 00000000A180: D3B140C4 18038966
	v_pk_mul_f32 v[198:199], v[102:103], v[198:199]            // 00000000A188: D3B140C6 18038D66
	v_cvt_f32_i32_e32 v200, v200                               // 00000000A190: 7F900BC8
	v_cvt_f32_i32_e32 v201, v201                               // 00000000A194: 7F920BC9
	v_cvt_f32_i32_e32 v202, v202                               // 00000000A198: 7F940BCA
	v_cvt_f32_i32_e32 v203, v203                               // 00000000A19C: 7F960BCB
	v_pk_mul_f32 v[200:201], v[96:97], v[200:201]              // 00000000A1A0: D3B140C8 18039160
	v_pk_mul_f32 v[202:203], v[96:97], v[202:203]              // 00000000A1A8: D3B140CA 18039560
	v_mul_f32_dpp v200, v12, v200 row_newbcast:4 row_mask:0xf bank_mask:0xf// 00000000A1B0: 0B9190FA FF01540C
	v_mul_f32_dpp v201, v12, v201 row_newbcast:5 row_mask:0xf bank_mask:0xf// 00000000A1B8: 0B9392FA FF01550C
	v_mul_f32_dpp v202, v12, v202 row_newbcast:6 row_mask:0xf bank_mask:0xf// 00000000A1C0: 0B9594FA FF01560C
	v_mul_f32_dpp v203, v12, v203 row_newbcast:7 row_mask:0xf bank_mask:0xf// 00000000A1C8: 0B9796FA FF01570C
	v_pk_mul_f32 v[200:201], v[100:101], v[200:201]            // 00000000A1D0: D3B140C8 18039164
	v_pk_mul_f32 v[202:203], v[100:101], v[202:203]            // 00000000A1D8: D3B140CA 18039564
	v_cvt_f32_i32_e32 v204, v204                               // 00000000A1E0: 7F980BCC
	v_cvt_f32_i32_e32 v205, v205                               // 00000000A1E4: 7F9A0BCD
	v_cvt_f32_i32_e32 v206, v206                               // 00000000A1E8: 7F9C0BCE
	v_cvt_f32_i32_e32 v207, v207                               // 00000000A1EC: 7F9E0BCF
	v_pk_mul_f32 v[204:205], v[98:99], v[204:205]              // 00000000A1F0: D3B140CC 18039962
	v_pk_mul_f32 v[206:207], v[98:99], v[206:207]              // 00000000A1F8: D3B140CE 18039D62
	v_mul_f32_dpp v204, v12, v204 row_newbcast:4 row_mask:0xf bank_mask:0xf// 00000000A200: 0B9998FA FF01540C
	v_mul_f32_dpp v205, v12, v205 row_newbcast:5 row_mask:0xf bank_mask:0xf// 00000000A208: 0B9B9AFA FF01550C
	v_mul_f32_dpp v206, v12, v206 row_newbcast:6 row_mask:0xf bank_mask:0xf// 00000000A210: 0B9D9CFA FF01560C
	v_mul_f32_dpp v207, v12, v207 row_newbcast:7 row_mask:0xf bank_mask:0xf// 00000000A218: 0B9F9EFA FF01570C
	v_pk_mul_f32 v[204:205], v[102:103], v[204:205]            // 00000000A220: D3B140CC 18039966
	v_pk_mul_f32 v[206:207], v[102:103], v[206:207]            // 00000000A228: D3B140CE 18039D66
	v_cvt_f32_i32_e32 v208, v208                               // 00000000A230: 7FA00BD0
	v_cvt_f32_i32_e32 v209, v209                               // 00000000A234: 7FA20BD1
	v_cvt_f32_i32_e32 v210, v210                               // 00000000A238: 7FA40BD2
	v_cvt_f32_i32_e32 v211, v211                               // 00000000A23C: 7FA60BD3
	v_pk_mul_f32 v[208:209], v[96:97], v[208:209]              // 00000000A240: D3B140D0 1803A160
	v_pk_mul_f32 v[210:211], v[96:97], v[210:211]              // 00000000A248: D3B140D2 1803A560
	v_mul_f32_dpp v208, v12, v208 row_newbcast:8 row_mask:0xf bank_mask:0xf// 00000000A250: 0BA1A0FA FF01580C
	v_mul_f32_dpp v209, v12, v209 row_newbcast:9 row_mask:0xf bank_mask:0xf// 00000000A258: 0BA3A2FA FF01590C
	v_mul_f32_dpp v210, v12, v210 row_newbcast:10 row_mask:0xf bank_mask:0xf// 00000000A260: 0BA5A4FA FF015A0C
	v_mul_f32_dpp v211, v12, v211 row_newbcast:11 row_mask:0xf bank_mask:0xf// 00000000A268: 0BA7A6FA FF015B0C
	v_pk_mul_f32 v[208:209], v[100:101], v[208:209]            // 00000000A270: D3B140D0 1803A164
	v_pk_mul_f32 v[210:211], v[100:101], v[210:211]            // 00000000A278: D3B140D2 1803A564
	v_cvt_f32_i32_e32 v212, v212                               // 00000000A280: 7FA80BD4
	v_cvt_f32_i32_e32 v213, v213                               // 00000000A284: 7FAA0BD5
	v_cvt_f32_i32_e32 v214, v214                               // 00000000A288: 7FAC0BD6
	v_cvt_f32_i32_e32 v215, v215                               // 00000000A28C: 7FAE0BD7
	v_pk_mul_f32 v[212:213], v[98:99], v[212:213]              // 00000000A290: D3B140D4 1803A962
	v_pk_mul_f32 v[214:215], v[98:99], v[214:215]              // 00000000A298: D3B140D6 1803AD62
	v_mul_f32_dpp v212, v12, v212 row_newbcast:8 row_mask:0xf bank_mask:0xf// 00000000A2A0: 0BA9A8FA FF01580C
	v_mul_f32_dpp v213, v12, v213 row_newbcast:9 row_mask:0xf bank_mask:0xf// 00000000A2A8: 0BABAAFA FF01590C
	v_mul_f32_dpp v214, v12, v214 row_newbcast:10 row_mask:0xf bank_mask:0xf// 00000000A2B0: 0BADACFA FF015A0C
	v_mul_f32_dpp v215, v12, v215 row_newbcast:11 row_mask:0xf bank_mask:0xf// 00000000A2B8: 0BAFAEFA FF015B0C
	v_pk_mul_f32 v[212:213], v[102:103], v[212:213]            // 00000000A2C0: D3B140D4 1803A966
	v_pk_mul_f32 v[214:215], v[102:103], v[214:215]            // 00000000A2C8: D3B140D6 1803AD66
	v_cvt_f32_i32_e32 v216, v216                               // 00000000A2D0: 7FB00BD8
	v_cvt_f32_i32_e32 v217, v217                               // 00000000A2D4: 7FB20BD9
	v_cvt_f32_i32_e32 v218, v218                               // 00000000A2D8: 7FB40BDA
	v_cvt_f32_i32_e32 v219, v219                               // 00000000A2DC: 7FB60BDB
	v_pk_mul_f32 v[216:217], v[96:97], v[216:217]              // 00000000A2E0: D3B140D8 1803B160
	v_pk_mul_f32 v[218:219], v[96:97], v[218:219]              // 00000000A2E8: D3B140DA 1803B560
	v_mul_f32_dpp v216, v12, v216 row_newbcast:12 row_mask:0xf bank_mask:0xf// 00000000A2F0: 0BB1B0FA FF015C0C
	v_mul_f32_dpp v217, v12, v217 row_newbcast:13 row_mask:0xf bank_mask:0xf// 00000000A2F8: 0BB3B2FA FF015D0C
	v_mul_f32_dpp v218, v12, v218 row_newbcast:14 row_mask:0xf bank_mask:0xf// 00000000A300: 0BB5B4FA FF015E0C
	v_mul_f32_dpp v219, v12, v219 row_newbcast:15 row_mask:0xf bank_mask:0xf// 00000000A308: 0BB7B6FA FF015F0C
	v_pk_mul_f32 v[216:217], v[100:101], v[216:217]            // 00000000A310: D3B140D8 1803B164
	v_pk_mul_f32 v[218:219], v[100:101], v[218:219]            // 00000000A318: D3B140DA 1803B564
	v_cvt_f32_i32_e32 v220, v220                               // 00000000A320: 7FB80BDC
	v_cvt_f32_i32_e32 v221, v221                               // 00000000A324: 7FBA0BDD
	v_cvt_f32_i32_e32 v222, v222                               // 00000000A328: 7FBC0BDE
	v_cvt_f32_i32_e32 v223, v223                               // 00000000A32C: 7FBE0BDF
	v_pk_mul_f32 v[220:221], v[98:99], v[220:221]              // 00000000A330: D3B140DC 1803B962
	v_pk_mul_f32 v[222:223], v[98:99], v[222:223]              // 00000000A338: D3B140DE 1803BD62
	v_mul_f32_dpp v220, v12, v220 row_newbcast:12 row_mask:0xf bank_mask:0xf// 00000000A340: 0BB9B8FA FF015C0C
	v_mul_f32_dpp v221, v12, v221 row_newbcast:13 row_mask:0xf bank_mask:0xf// 00000000A348: 0BBBBAFA FF015D0C
	v_mul_f32_dpp v222, v12, v222 row_newbcast:14 row_mask:0xf bank_mask:0xf// 00000000A350: 0BBDBCFA FF015E0C
	v_mul_f32_dpp v223, v12, v223 row_newbcast:15 row_mask:0xf bank_mask:0xf// 00000000A358: 0BBFBEFA FF015F0C
	v_pk_mul_f32 v[220:221], v[102:103], v[220:221]            // 00000000A360: D3B140DC 1803B966
	v_pk_mul_f32 v[222:223], v[102:103], v[222:223]            // 00000000A368: D3B140DE 1803BD66
	v_cmp_u_f32_e64 s[48:49], v192, v192                       // 00000000A370: D0480030 000381C0
	v_add3_u32 v50, v192, v53, 1                               // 00000000A378: D1FF0032 02066BC0
	v_cndmask_b32_e64 v54, v50, v52, s[48:49]                  // 00000000A380: D1000036 00C26932
	v_cmp_u_f32_e64 s[48:49], v193, v193                       // 00000000A388: D0480030 000383C1
	v_add3_u32 v50, v193, v53, 1                               // 00000000A390: D1FF0032 02066BC1
	v_cndmask_b32_e64 v55, v50, v52, s[48:49]                  // 00000000A398: D1000037 00C26932
	v_perm_b32 v192, v55, v54, s52                             // 00000000A3A0: D1ED00C0 00D26D37
	v_cmp_u_f32_e64 s[48:49], v194, v194                       // 00000000A3A8: D0480030 000385C2
	v_add3_u32 v50, v194, v53, 1                               // 00000000A3B0: D1FF0032 02066BC2
	v_cndmask_b32_e64 v54, v50, v52, s[48:49]                  // 00000000A3B8: D1000036 00C26932
	v_cmp_u_f32_e64 s[48:49], v195, v195                       // 00000000A3C0: D0480030 000387C3
	v_add3_u32 v50, v195, v53, 1                               // 00000000A3C8: D1FF0032 02066BC3
	v_cndmask_b32_e64 v55, v50, v52, s[48:49]                  // 00000000A3D0: D1000037 00C26932
	v_perm_b32 v193, v55, v54, s52                             // 00000000A3D8: D1ED00C1 00D26D37
	v_cmp_u_f32_e64 s[48:49], v196, v196                       // 00000000A3E0: D0480030 000389C4
	v_add3_u32 v50, v196, v53, 1                               // 00000000A3E8: D1FF0032 02066BC4
	v_cndmask_b32_e64 v54, v50, v52, s[48:49]                  // 00000000A3F0: D1000036 00C26932
	v_cmp_u_f32_e64 s[48:49], v197, v197                       // 00000000A3F8: D0480030 00038BC5
	v_add3_u32 v50, v197, v53, 1                               // 00000000A400: D1FF0032 02066BC5
	v_cndmask_b32_e64 v55, v50, v52, s[48:49]                  // 00000000A408: D1000037 00C26932
	v_perm_b32 v194, v55, v54, s52                             // 00000000A410: D1ED00C2 00D26D37
	v_cmp_u_f32_e64 s[48:49], v198, v198                       // 00000000A418: D0480030 00038DC6
	v_add3_u32 v50, v198, v53, 1                               // 00000000A420: D1FF0032 02066BC6
	v_cndmask_b32_e64 v54, v50, v52, s[48:49]                  // 00000000A428: D1000036 00C26932
	v_cmp_u_f32_e64 s[48:49], v199, v199                       // 00000000A430: D0480030 00038FC7
	v_add3_u32 v50, v199, v53, 1                               // 00000000A438: D1FF0032 02066BC7
	v_cndmask_b32_e64 v55, v50, v52, s[48:49]                  // 00000000A440: D1000037 00C26932
	v_perm_b32 v195, v55, v54, s52                             // 00000000A448: D1ED00C3 00D26D37
	v_cmp_u_f32_e64 s[48:49], v200, v200                       // 00000000A450: D0480030 000391C8
	v_add3_u32 v50, v200, v53, 1                               // 00000000A458: D1FF0032 02066BC8
	v_cndmask_b32_e64 v54, v50, v52, s[48:49]                  // 00000000A460: D1000036 00C26932
	v_cmp_u_f32_e64 s[48:49], v201, v201                       // 00000000A468: D0480030 000393C9
	v_add3_u32 v50, v201, v53, 1                               // 00000000A470: D1FF0032 02066BC9
	v_cndmask_b32_e64 v55, v50, v52, s[48:49]                  // 00000000A478: D1000037 00C26932
	v_perm_b32 v196, v55, v54, s52                             // 00000000A480: D1ED00C4 00D26D37
	v_cmp_u_f32_e64 s[48:49], v202, v202                       // 00000000A488: D0480030 000395CA
	v_add3_u32 v50, v202, v53, 1                               // 00000000A490: D1FF0032 02066BCA
	v_cndmask_b32_e64 v54, v50, v52, s[48:49]                  // 00000000A498: D1000036 00C26932
	v_cmp_u_f32_e64 s[48:49], v203, v203                       // 00000000A4A0: D0480030 000397CB
	v_add3_u32 v50, v203, v53, 1                               // 00000000A4A8: D1FF0032 02066BCB
	v_cndmask_b32_e64 v55, v50, v52, s[48:49]                  // 00000000A4B0: D1000037 00C26932
	v_perm_b32 v197, v55, v54, s52                             // 00000000A4B8: D1ED00C5 00D26D37
	v_cmp_u_f32_e64 s[48:49], v204, v204                       // 00000000A4C0: D0480030 000399CC
	v_add3_u32 v50, v204, v53, 1                               // 00000000A4C8: D1FF0032 02066BCC
	v_cndmask_b32_e64 v54, v50, v52, s[48:49]                  // 00000000A4D0: D1000036 00C26932
	v_cmp_u_f32_e64 s[48:49], v205, v205                       // 00000000A4D8: D0480030 00039BCD
	v_add3_u32 v50, v205, v53, 1                               // 00000000A4E0: D1FF0032 02066BCD
	v_cndmask_b32_e64 v55, v50, v52, s[48:49]                  // 00000000A4E8: D1000037 00C26932
	v_perm_b32 v198, v55, v54, s52                             // 00000000A4F0: D1ED00C6 00D26D37
	v_cmp_u_f32_e64 s[48:49], v206, v206                       // 00000000A4F8: D0480030 00039DCE
	v_add3_u32 v50, v206, v53, 1                               // 00000000A500: D1FF0032 02066BCE
	v_cndmask_b32_e64 v54, v50, v52, s[48:49]                  // 00000000A508: D1000036 00C26932
	v_cmp_u_f32_e64 s[48:49], v207, v207                       // 00000000A510: D0480030 00039FCF
	v_add3_u32 v50, v207, v53, 1                               // 00000000A518: D1FF0032 02066BCF
	v_cndmask_b32_e64 v55, v50, v52, s[48:49]                  // 00000000A520: D1000037 00C26932
	v_perm_b32 v199, v55, v54, s52                             // 00000000A528: D1ED00C7 00D26D37
	v_cmp_u_f32_e64 s[48:49], v208, v208                       // 00000000A530: D0480030 0003A1D0
	v_add3_u32 v50, v208, v53, 1                               // 00000000A538: D1FF0032 02066BD0
	v_cndmask_b32_e64 v54, v50, v52, s[48:49]                  // 00000000A540: D1000036 00C26932
	v_cmp_u_f32_e64 s[48:49], v209, v209                       // 00000000A548: D0480030 0003A3D1
	v_add3_u32 v50, v209, v53, 1                               // 00000000A550: D1FF0032 02066BD1
	v_cndmask_b32_e64 v55, v50, v52, s[48:49]                  // 00000000A558: D1000037 00C26932
	v_perm_b32 v200, v55, v54, s52                             // 00000000A560: D1ED00C8 00D26D37
	v_cmp_u_f32_e64 s[48:49], v210, v210                       // 00000000A568: D0480030 0003A5D2
	v_add3_u32 v50, v210, v53, 1                               // 00000000A570: D1FF0032 02066BD2
	v_cndmask_b32_e64 v54, v50, v52, s[48:49]                  // 00000000A578: D1000036 00C26932
	v_cmp_u_f32_e64 s[48:49], v211, v211                       // 00000000A580: D0480030 0003A7D3
	v_add3_u32 v50, v211, v53, 1                               // 00000000A588: D1FF0032 02066BD3
	v_cndmask_b32_e64 v55, v50, v52, s[48:49]                  // 00000000A590: D1000037 00C26932
	v_perm_b32 v201, v55, v54, s52                             // 00000000A598: D1ED00C9 00D26D37
	v_cmp_u_f32_e64 s[48:49], v212, v212                       // 00000000A5A0: D0480030 0003A9D4
	v_add3_u32 v50, v212, v53, 1                               // 00000000A5A8: D1FF0032 02066BD4
	v_cndmask_b32_e64 v54, v50, v52, s[48:49]                  // 00000000A5B0: D1000036 00C26932
	v_cmp_u_f32_e64 s[48:49], v213, v213                       // 00000000A5B8: D0480030 0003ABD5
	v_add3_u32 v50, v213, v53, 1                               // 00000000A5C0: D1FF0032 02066BD5
	v_cndmask_b32_e64 v55, v50, v52, s[48:49]                  // 00000000A5C8: D1000037 00C26932
	v_perm_b32 v202, v55, v54, s52                             // 00000000A5D0: D1ED00CA 00D26D37
	v_cmp_u_f32_e64 s[48:49], v214, v214                       // 00000000A5D8: D0480030 0003ADD6
	v_add3_u32 v50, v214, v53, 1                               // 00000000A5E0: D1FF0032 02066BD6
	v_cndmask_b32_e64 v54, v50, v52, s[48:49]                  // 00000000A5E8: D1000036 00C26932
	v_cmp_u_f32_e64 s[48:49], v215, v215                       // 00000000A5F0: D0480030 0003AFD7
	v_add3_u32 v50, v215, v53, 1                               // 00000000A5F8: D1FF0032 02066BD7
	v_cndmask_b32_e64 v55, v50, v52, s[48:49]                  // 00000000A600: D1000037 00C26932
	v_perm_b32 v203, v55, v54, s52                             // 00000000A608: D1ED00CB 00D26D37
	v_cmp_u_f32_e64 s[48:49], v216, v216                       // 00000000A610: D0480030 0003B1D8
	v_add3_u32 v50, v216, v53, 1                               // 00000000A618: D1FF0032 02066BD8
	v_cndmask_b32_e64 v54, v50, v52, s[48:49]                  // 00000000A620: D1000036 00C26932
	v_cmp_u_f32_e64 s[48:49], v217, v217                       // 00000000A628: D0480030 0003B3D9
	v_add3_u32 v50, v217, v53, 1                               // 00000000A630: D1FF0032 02066BD9
	v_cndmask_b32_e64 v55, v50, v52, s[48:49]                  // 00000000A638: D1000037 00C26932
	v_perm_b32 v204, v55, v54, s52                             // 00000000A640: D1ED00CC 00D26D37
	v_cmp_u_f32_e64 s[48:49], v218, v218                       // 00000000A648: D0480030 0003B5DA
	v_add3_u32 v50, v218, v53, 1                               // 00000000A650: D1FF0032 02066BDA
	v_cndmask_b32_e64 v54, v50, v52, s[48:49]                  // 00000000A658: D1000036 00C26932
	v_cmp_u_f32_e64 s[48:49], v219, v219                       // 00000000A660: D0480030 0003B7DB
	v_add3_u32 v50, v219, v53, 1                               // 00000000A668: D1FF0032 02066BDB
	v_cndmask_b32_e64 v55, v50, v52, s[48:49]                  // 00000000A670: D1000037 00C26932
	v_perm_b32 v205, v55, v54, s52                             // 00000000A678: D1ED00CD 00D26D37
	v_cmp_u_f32_e64 s[48:49], v220, v220                       // 00000000A680: D0480030 0003B9DC
	v_add3_u32 v50, v220, v53, 1                               // 00000000A688: D1FF0032 02066BDC
	v_cndmask_b32_e64 v54, v50, v52, s[48:49]                  // 00000000A690: D1000036 00C26932
	v_cmp_u_f32_e64 s[48:49], v221, v221                       // 00000000A698: D0480030 0003BBDD
	v_add3_u32 v50, v221, v53, 1                               // 00000000A6A0: D1FF0032 02066BDD
	v_cndmask_b32_e64 v55, v50, v52, s[48:49]                  // 00000000A6A8: D1000037 00C26932
	v_perm_b32 v206, v55, v54, s52                             // 00000000A6B0: D1ED00CE 00D26D37
	v_cmp_u_f32_e64 s[48:49], v222, v222                       // 00000000A6B8: D0480030 0003BDDE
	v_add3_u32 v50, v222, v53, 1                               // 00000000A6C0: D1FF0032 02066BDE
	v_cndmask_b32_e64 v54, v50, v52, s[48:49]                  // 00000000A6C8: D1000036 00C26932
	v_cmp_u_f32_e64 s[48:49], v223, v223                       // 00000000A6D0: D0480030 0003BFDF
	v_add3_u32 v50, v223, v53, 1                               // 00000000A6D8: D1FF0032 02066BDF
	v_cndmask_b32_e64 v55, v50, v52, s[48:49]                  // 00000000A6E0: D1000037 00C26932
	v_perm_b32 v207, v55, v54, s52                             // 00000000A6E8: D1ED00CF 00D26D37
	s_setvskip s20, 0                                          // 00000000A6F0: BF108014
	global_atomic_pk_add_bf16 v80, v64, s[8:9]                 // 00000000A6F4: DD488000 00084050
	s_setvskip 0, 0                                            // 00000000A6FC: BF108080
	s_setvskip s20, 0                                          // 00000000A700: BF108014
	global_atomic_pk_add_bf16 v80, v65, s[8:9] offset:256      // 00000000A704: DD488100 00084150
	s_setvskip 0, 0                                            // 00000000A70C: BF108080
	s_setvskip s20, 1                                          // 00000000A710: BF108114
	global_atomic_pk_add_bf16 v82, v66, s[8:9]                 // 00000000A714: DD488000 00084252
	s_setvskip 0, 0                                            // 00000000A71C: BF108080
	s_setvskip s20, 1                                          // 00000000A720: BF108114
	global_atomic_pk_add_bf16 v82, v67, s[8:9] offset:256      // 00000000A724: DD488100 00084352
	s_setvskip 0, 0                                            // 00000000A72C: BF108080
	s_setvskip s20, 2                                          // 00000000A730: BF108214
	global_atomic_pk_add_bf16 v84, v68, s[8:9]                 // 00000000A734: DD488000 00084454
	s_setvskip 0, 0                                            // 00000000A73C: BF108080
	s_setvskip s20, 2                                          // 00000000A740: BF108214
	global_atomic_pk_add_bf16 v84, v69, s[8:9] offset:256      // 00000000A744: DD488100 00084554
	s_setvskip 0, 0                                            // 00000000A74C: BF108080
	s_setvskip s20, 3                                          // 00000000A750: BF108314
	global_atomic_pk_add_bf16 v86, v70, s[8:9]                 // 00000000A754: DD488000 00084656
	s_setvskip 0, 0                                            // 00000000A75C: BF108080
	s_setvskip s20, 3                                          // 00000000A760: BF108314
	global_atomic_pk_add_bf16 v86, v71, s[8:9] offset:256      // 00000000A764: DD488100 00084756
	s_setvskip 0, 0                                            // 00000000A76C: BF108080
	s_setvskip s20, 4                                          // 00000000A770: BF108414
	global_atomic_pk_add_bf16 v88, v72, s[8:9]                 // 00000000A774: DD488000 00084858
	s_setvskip 0, 0                                            // 00000000A77C: BF108080
	s_setvskip s20, 4                                          // 00000000A780: BF108414
	global_atomic_pk_add_bf16 v88, v73, s[8:9] offset:256      // 00000000A784: DD488100 00084958
	s_setvskip 0, 0                                            // 00000000A78C: BF108080
	s_setvskip s20, 5                                          // 00000000A790: BF108514
	global_atomic_pk_add_bf16 v90, v74, s[8:9]                 // 00000000A794: DD488000 00084A5A
	s_setvskip 0, 0                                            // 00000000A79C: BF108080
	s_setvskip s20, 5                                          // 00000000A7A0: BF108514
	global_atomic_pk_add_bf16 v90, v75, s[8:9] offset:256      // 00000000A7A4: DD488100 00084B5A
	s_setvskip 0, 0                                            // 00000000A7AC: BF108080
	s_setvskip s20, 6                                          // 00000000A7B0: BF108614
	global_atomic_pk_add_bf16 v92, v76, s[8:9]                 // 00000000A7B4: DD488000 00084C5C
	s_setvskip 0, 0                                            // 00000000A7BC: BF108080
	s_setvskip s20, 6                                          // 00000000A7C0: BF108614
	global_atomic_pk_add_bf16 v92, v77, s[8:9] offset:256      // 00000000A7C4: DD488100 00084D5C
	s_setvskip 0, 0                                            // 00000000A7CC: BF108080
	s_setvskip s20, 7                                          // 00000000A7D0: BF108714
	global_atomic_pk_add_bf16 v94, v78, s[8:9]                 // 00000000A7D4: DD488000 00084E5E
	s_setvskip 0, 0                                            // 00000000A7DC: BF108080
	s_setvskip s20, 7                                          // 00000000A7E0: BF108714
	global_atomic_pk_add_bf16 v94, v79, s[8:9] offset:256      // 00000000A7E4: DD488100 00084F5E
	s_setvskip 0, 0                                            // 00000000A7EC: BF108080
	s_cmp_ge_u32 s80, 0x200                                    // 00000000A7F0: BF09FF50 00000200
	s_cselect_b32 s59, 0x200, s59                              // 00000000A7F8: 853B3BFF 00000200
	s_add_u32 s8, s59, s8                                      // 00000000A800: 8008083B
	s_addc_u32 s9, 0, s9                                       // 00000000A804: 82090980
	s_addk_i32 s80, 0x100                                      // 00000000A808: B7500100
	s_cmp_lt_i32 s80, s81                                      // 00000000A80C: BF045150
	s_cbranch_scc0 label_12A2                                  // 00000000A810: BF84F35D
	s_waitcnt vmcnt(25) lgkmcnt(0)                             // 00000000A814: BF8C4079
	s_barrier                                                  // 00000000A818: BF8A0000
	v_mfma_i32_16x16x32_i8 v[224:227], a[128:129], v[128:129], 0// 00000000A81C: D3D700E0 0A030180
	buffer_load_dwordx4 a[0:3], v42, s[12:15], 0 offen         // 00000000A824: E05C1000 8083002A
	v_mfma_i32_16x16x32_i8 v[224:227], a[130:131], v[130:131], v[224:227]// 00000000A82C: D3D700E0 0F830582
	ds_read_b32 v64, v4 offset:36096                           // 00000000A834: D86C8D00 40000004
	ds_read_b32 v65, v4 offset:40448                           // 00000000A83C: D86C9E00 41000004
	v_mfma_i32_16x16x32_i8 v[224:227], a[132:133], v[132:133], v[224:227]// 00000000A844: D3D700E0 0F830984
	v_mfma_i32_16x16x32_i8 v[224:227], a[134:135], v[134:135], v[224:227]// 00000000A84C: D3D700E0 0F830D86
	ds_read_b32 v66, v4 offset:36128                           // 00000000A854: D86C8D20 42000004
	ds_read_b32 v67, v4 offset:40480                           // 00000000A85C: D86C9E20 43000004
	v_mfma_i32_16x16x32_i8 v[224:227], a[136:137], v[136:137], v[224:227]// 00000000A864: D3D700E0 0F831188
	buffer_load_dwordx4 a[4:7], v42, s[12:15], 0 offen offset:1024// 00000000A86C: E05C1400 8083042A
	v_mfma_i32_16x16x32_i8 v[224:227], a[138:139], v[138:139], v[224:227]// 00000000A874: D3D700E0 0F83158A
	ds_read_b32 v68, v4 offset:36160                           // 00000000A87C: D86C8D40 44000004
	ds_read_b32 v69, v4 offset:40512                           // 00000000A884: D86C9E40 45000004
	v_mfma_i32_16x16x32_i8 v[224:227], a[140:141], v[140:141], v[224:227]// 00000000A88C: D3D700E0 0F83198C
	v_mfma_i32_16x16x32_i8 v[224:227], a[142:143], v[142:143], v[224:227]// 00000000A894: D3D700E0 0F831D8E
	ds_read_b32 v70, v4 offset:36192                           // 00000000A89C: D86C8D60 46000004
	ds_read_b32 v71, v4 offset:40544                           // 00000000A8A4: D86C9E60 47000004
	v_mfma_i32_16x16x32_i8 v[228:231], a[128:129], v[160:161], 0// 00000000A8AC: D3D700E4 0A034180
	buffer_load_dwordx4 a[8:11], v42, s[12:15], 0 offen offset:2048// 00000000A8B4: E05C1800 8083082A
	v_mfma_i32_16x16x32_i8 v[228:231], a[130:131], v[162:163], v[228:231]// 00000000A8BC: D3D700E4 0F934582
	ds_read_b32 v72, v4 offset:44800                           // 00000000A8C4: D86CAF00 48000004
	ds_read_b32 v73, v4 offset:49152                           // 00000000A8CC: D86CC000 49000004
	v_mfma_i32_16x16x32_i8 v[228:231], a[132:133], v[164:165], v[228:231]// 00000000A8D4: D3D700E4 0F934984
	v_mfma_i32_16x16x32_i8 v[228:231], a[134:135], v[166:167], v[228:231]// 00000000A8DC: D3D700E4 0F934D86
	ds_read_b32 v74, v4 offset:44832                           // 00000000A8E4: D86CAF20 4A000004
	ds_read_b32 v75, v4 offset:49184                           // 00000000A8EC: D86CC020 4B000004
	v_mfma_i32_16x16x32_i8 v[228:231], a[136:137], v[168:169], v[228:231]// 00000000A8F4: D3D700E4 0F935188
	buffer_load_dwordx4 a[12:15], v42, s[12:15], 0 offen offset:3072// 00000000A8FC: E05C1C00 80830C2A
	v_mfma_i32_16x16x32_i8 v[228:231], a[138:139], v[170:171], v[228:231]// 00000000A904: D3D700E4 0F93558A
	ds_read_b32 v76, v4 offset:44864                           // 00000000A90C: D86CAF40 4C000004
	ds_read_b32 v77, v4 offset:49216                           // 00000000A914: D86CC040 4D000004
	v_mfma_i32_16x16x32_i8 v[228:231], a[140:141], v[172:173], v[228:231]// 00000000A91C: D3D700E4 0F93598C
	v_mfma_i32_16x16x32_i8 v[228:231], a[142:143], v[174:175], v[228:231]// 00000000A924: D3D700E4 0F935D8E
	ds_read_b32 v78, v4 offset:44896                           // 00000000A92C: D86CAF60 4E000004
	ds_read_b32 v79, v4 offset:49248                           // 00000000A934: D86CC060 4F000004
	v_mfma_i32_16x16x32_i8 v[232:235], a[144:145], v[128:129], 0// 00000000A93C: D3D700E8 0A030190
	buffer_load_dwordx4 a[16:19], v43, s[12:15], 0 offen       // 00000000A944: E05C1000 8083102B
	v_mfma_i32_16x16x32_i8 v[232:235], a[146:147], v[130:131], v[232:235]// 00000000A94C: D3D700E8 0FA30592
	v_mfma_i32_16x16x32_i8 v[232:235], a[148:149], v[132:133], v[232:235]// 00000000A954: D3D700E8 0FA30994
	v_mfma_i32_16x16x32_i8 v[232:235], a[150:151], v[134:135], v[232:235]// 00000000A95C: D3D700E8 0FA30D96
	v_mfma_i32_16x16x32_i8 v[232:235], a[152:153], v[136:137], v[232:235]// 00000000A964: D3D700E8 0FA31198
	buffer_load_dwordx4 a[20:23], v43, s[12:15], 0 offen offset:1024// 00000000A96C: E05C1400 8083142B
	v_mfma_i32_16x16x32_i8 v[232:235], a[154:155], v[138:139], v[232:235]// 00000000A974: D3D700E8 0FA3159A
	v_mfma_i32_16x16x32_i8 v[232:235], a[156:157], v[140:141], v[232:235]// 00000000A97C: D3D700E8 0FA3199C
	v_mfma_i32_16x16x32_i8 v[232:235], a[158:159], v[142:143], v[232:235]// 00000000A984: D3D700E8 0FA31D9E
	v_mfma_i32_16x16x32_i8 v[236:239], a[144:145], v[160:161], 0// 00000000A98C: D3D700EC 0A034190
	buffer_load_dwordx4 a[24:27], v43, s[12:15], 0 offen offset:2048// 00000000A994: E05C1800 8083182B
	v_mfma_i32_16x16x32_i8 v[236:239], a[146:147], v[162:163], v[236:239]// 00000000A99C: D3D700EC 0FB34592
	v_mfma_i32_16x16x32_i8 v[236:239], a[148:149], v[164:165], v[236:239]// 00000000A9A4: D3D700EC 0FB34994
	v_mfma_i32_16x16x32_i8 v[236:239], a[150:151], v[166:167], v[236:239]// 00000000A9AC: D3D700EC 0FB34D96
	v_mfma_i32_16x16x32_i8 v[236:239], a[152:153], v[168:169], v[236:239]// 00000000A9B4: D3D700EC 0FB35198
	buffer_load_dwordx4 a[28:31], v43, s[12:15], 0 offen offset:3072// 00000000A9BC: E05C1C00 80831C2B
	v_mfma_i32_16x16x32_i8 v[236:239], a[154:155], v[170:171], v[236:239]// 00000000A9C4: D3D700EC 0FB3559A
	v_mfma_i32_16x16x32_i8 v[236:239], a[156:157], v[172:173], v[236:239]// 00000000A9CC: D3D700EC 0FB3599C
	v_mfma_i32_16x16x32_i8 v[236:239], a[158:159], v[174:175], v[236:239]// 00000000A9D4: D3D700EC 0FB35D9E
	s_waitcnt vmcnt(25)                                        // 00000000A9DC: BF8C4F79
	v_mfma_i32_16x16x32_i8 v[240:243], a[160:161], v[128:129], 0// 00000000A9E0: D3D700F0 0A0301A0
	buffer_load_dwordx4 a[32:35], v44, s[12:15], 0 offen       // 00000000A9E8: E05C1000 8083202C
	v_mfma_i32_16x16x32_i8 v[240:243], a[162:163], v[130:131], v[240:243]// 00000000A9F0: D3D700F0 0FC305A2
	v_mfma_i32_16x16x32_i8 v[240:243], a[164:165], v[132:133], v[240:243]// 00000000A9F8: D3D700F0 0FC309A4
	v_mfma_i32_16x16x32_i8 v[240:243], a[166:167], v[134:135], v[240:243]// 00000000AA00: D3D700F0 0FC30DA6
	v_mfma_i32_16x16x32_i8 v[240:243], a[168:169], v[136:137], v[240:243]// 00000000AA08: D3D700F0 0FC311A8
	buffer_load_dwordx4 a[36:39], v44, s[12:15], 0 offen offset:1024// 00000000AA10: E05C1400 8083242C
	v_mfma_i32_16x16x32_i8 v[240:243], a[170:171], v[138:139], v[240:243]// 00000000AA18: D3D700F0 0FC315AA
	v_mfma_i32_16x16x32_i8 v[240:243], a[172:173], v[140:141], v[240:243]// 00000000AA20: D3D700F0 0FC319AC
	v_mfma_i32_16x16x32_i8 v[240:243], a[174:175], v[142:143], v[240:243]// 00000000AA28: D3D700F0 0FC31DAE
	v_mfma_i32_16x16x32_i8 v[244:247], a[160:161], v[160:161], 0// 00000000AA30: D3D700F4 0A0341A0
	buffer_load_dwordx4 a[40:43], v44, s[12:15], 0 offen offset:2048// 00000000AA38: E05C1800 8083282C
	v_mfma_i32_16x16x32_i8 v[244:247], a[162:163], v[162:163], v[244:247]// 00000000AA40: D3D700F4 0FD345A2
	v_mfma_i32_16x16x32_i8 v[244:247], a[164:165], v[164:165], v[244:247]// 00000000AA48: D3D700F4 0FD349A4
	v_mfma_i32_16x16x32_i8 v[244:247], a[166:167], v[166:167], v[244:247]// 00000000AA50: D3D700F4 0FD34DA6
	v_mfma_i32_16x16x32_i8 v[244:247], a[168:169], v[168:169], v[244:247]// 00000000AA58: D3D700F4 0FD351A8
	buffer_load_dwordx4 a[44:47], v44, s[12:15], 0 offen offset:3072// 00000000AA60: E05C1C00 80832C2C
	v_mfma_i32_16x16x32_i8 v[244:247], a[170:171], v[170:171], v[244:247]// 00000000AA68: D3D700F4 0FD355AA
	v_mfma_i32_16x16x32_i8 v[244:247], a[172:173], v[172:173], v[244:247]// 00000000AA70: D3D700F4 0FD359AC
	v_mfma_i32_16x16x32_i8 v[244:247], a[174:175], v[174:175], v[244:247]// 00000000AA78: D3D700F4 0FD35DAE
	v_mfma_i32_16x16x32_i8 v[248:251], a[176:177], v[128:129], 0// 00000000AA80: D3D700F8 0A0301B0
	buffer_load_dwordx4 a[48:51], v45, s[12:15], 0 offen       // 00000000AA88: E05C1000 8083302D
	v_mfma_i32_16x16x32_i8 v[248:251], a[178:179], v[130:131], v[248:251]// 00000000AA90: D3D700F8 0FE305B2
	v_mfma_i32_16x16x32_i8 v[248:251], a[180:181], v[132:133], v[248:251]// 00000000AA98: D3D700F8 0FE309B4
	v_mfma_i32_16x16x32_i8 v[248:251], a[182:183], v[134:135], v[248:251]// 00000000AAA0: D3D700F8 0FE30DB6
	v_mfma_i32_16x16x32_i8 v[248:251], a[184:185], v[136:137], v[248:251]// 00000000AAA8: D3D700F8 0FE311B8
	buffer_load_dwordx4 a[52:55], v45, s[12:15], 0 offen offset:1024// 00000000AAB0: E05C1400 8083342D
	v_mfma_i32_16x16x32_i8 v[248:251], a[186:187], v[138:139], v[248:251]// 00000000AAB8: D3D700F8 0FE315BA
	v_mfma_i32_16x16x32_i8 v[248:251], a[188:189], v[140:141], v[248:251]// 00000000AAC0: D3D700F8 0FE319BC
	v_mfma_i32_16x16x32_i8 v[248:251], a[190:191], v[142:143], v[248:251]// 00000000AAC8: D3D700F8 0FE31DBE
	v_mfma_i32_16x16x32_i8 v[252:255], a[176:177], v[160:161], 0// 00000000AAD0: D3D700FC 0A0341B0
	buffer_load_dwordx4 a[56:59], v45, s[12:15], 0 offen offset:2048// 00000000AAD8: E05C1800 8083382D
	v_mfma_i32_16x16x32_i8 v[252:255], a[178:179], v[162:163], v[252:255]// 00000000AAE0: D3D700FC 0FF345B2
	v_mfma_i32_16x16x32_i8 v[252:255], a[180:181], v[164:165], v[252:255]// 00000000AAE8: D3D700FC 0FF349B4
	v_mfma_i32_16x16x32_i8 v[252:255], a[182:183], v[166:167], v[252:255]// 00000000AAF0: D3D700FC 0FF34DB6
	v_mfma_i32_16x16x32_i8 v[252:255], a[184:185], v[168:169], v[252:255]// 00000000AAF8: D3D700FC 0FF351B8
	buffer_load_dwordx4 a[60:63], v45, s[12:15], 0 offen offset:3072// 00000000AB00: E05C1C00 80833C2D
	s_add_u32 s12, s78, s12                                    // 00000000AB08: 800C0C4E
	s_addc_u32 s13, 0, s13                                     // 00000000AB0C: 820D0D80
	v_mfma_i32_16x16x32_i8 v[252:255], a[186:187], v[170:171], v[252:255]// 00000000AB10: D3D700FC 0FF355BA
	v_mfma_i32_16x16x32_i8 v[252:255], a[188:189], v[172:173], v[252:255]// 00000000AB18: D3D700FC 0FF359BC
	v_mfma_i32_16x16x32_i8 v[252:255], a[190:191], v[174:175], v[252:255]// 00000000AB20: D3D700FC 0FF35DBE
	s_waitcnt vmcnt(25)                                        // 00000000AB28: BF8C4F79
	v_mfma_i32_16x16x32_i8 v[224:227], a[192:193], v[144:145], v[224:227]// 00000000AB2C: D3D700E0 0F8321C0
	buffer_load_dwordx4 a[64:67], v42, s[12:15], 0 offen       // 00000000AB34: E05C1000 8083402A
	v_mfma_i32_16x16x32_i8 v[224:227], a[194:195], v[146:147], v[224:227]// 00000000AB3C: D3D700E0 0F8325C2
	ds_write_b64 v3, v[192:193] offset:18688                   // 00000000AB44: D89A4900 0000C003
	v_mfma_i32_16x16x32_i8 v[224:227], a[196:197], v[148:149], v[224:227]// 00000000AB4C: D3D700E0 0F8329C4
	v_mfma_i32_16x16x32_i8 v[224:227], a[198:199], v[150:151], v[224:227]// 00000000AB54: D3D700E0 0F832DC6
	ds_write_b64 v3, v[194:195] offset:27392                   // 00000000AB5C: D89A6B00 0000C203
	v_mfma_i32_16x16x32_i8 v[224:227], a[200:201], v[152:153], v[224:227]// 00000000AB64: D3D700E0 0F8331C8
	buffer_load_dwordx4 a[68:71], v42, s[12:15], 0 offen offset:1024// 00000000AB6C: E05C1400 8083442A
	v_mfma_i32_16x16x32_i8 v[224:227], a[202:203], v[154:155], v[224:227]// 00000000AB74: D3D700E0 0F8335CA
	ds_write_b64 v3, v[196:197] offset:20864                   // 00000000AB7C: D89A5180 0000C403
	v_mfma_i32_16x16x32_i8 v[224:227], a[204:205], v[156:157], v[224:227]// 00000000AB84: D3D700E0 0F8339CC
	v_mfma_i32_16x16x32_i8 v[224:227], a[206:207], v[158:159], v[224:227]// 00000000AB8C: D3D700E0 0F833DCE
	ds_write_b64 v3, v[198:199] offset:29568                   // 00000000AB94: D89A7380 0000C603
	v_mfma_i32_16x16x32_i8 v[228:231], a[192:193], v[176:177], v[228:231]// 00000000AB9C: D3D700E4 0F9361C0
	buffer_load_dwordx4 a[72:75], v42, s[12:15], 0 offen offset:2048// 00000000ABA4: E05C1800 8083482A
	v_mfma_i32_16x16x32_i8 v[228:231], a[194:195], v[178:179], v[228:231]// 00000000ABAC: D3D700E4 0F9365C2
	ds_write_b64 v3, v[200:201] offset:23040                   // 00000000ABB4: D89A5A00 0000C803
	v_mfma_i32_16x16x32_i8 v[228:231], a[196:197], v[180:181], v[228:231]// 00000000ABBC: D3D700E4 0F9369C4
	v_mfma_i32_16x16x32_i8 v[228:231], a[198:199], v[182:183], v[228:231]// 00000000ABC4: D3D700E4 0F936DC6
	ds_write_b64 v3, v[202:203] offset:31744                   // 00000000ABCC: D89A7C00 0000CA03
	v_mfma_i32_16x16x32_i8 v[228:231], a[200:201], v[184:185], v[228:231]// 00000000ABD4: D3D700E4 0F9371C8
	buffer_load_dwordx4 a[76:79], v42, s[12:15], 0 offen offset:3072// 00000000ABDC: E05C1C00 80834C2A
	v_mfma_i32_16x16x32_i8 v[228:231], a[202:203], v[186:187], v[228:231]// 00000000ABE4: D3D700E4 0F9375CA
	ds_write_b64 v3, v[204:205] offset:25216                   // 00000000ABEC: D89A6280 0000CC03
	v_mfma_i32_16x16x32_i8 v[228:231], a[204:205], v[188:189], v[228:231]// 00000000ABF4: D3D700E4 0F9379CC
	v_mfma_i32_16x16x32_i8 v[228:231], a[206:207], v[190:191], v[228:231]// 00000000ABFC: D3D700E4 0F937DCE
	ds_write_b64 v3, v[206:207] offset:33920                   // 00000000AC04: D89A8480 0000CE03
	v_mfma_i32_16x16x32_i8 v[232:235], a[208:209], v[144:145], v[232:235]// 00000000AC0C: D3D700E8 0FA321D0
	buffer_load_dwordx4 a[80:83], v43, s[12:15], 0 offen       // 00000000AC14: E05C1000 8083502B
	v_mfma_i32_16x16x32_i8 v[232:235], a[210:211], v[146:147], v[232:235]// 00000000AC1C: D3D700E8 0FA325D2
	v_mfma_i32_16x16x32_i8 v[232:235], a[212:213], v[148:149], v[232:235]// 00000000AC24: D3D700E8 0FA329D4
	v_mfma_i32_16x16x32_i8 v[232:235], a[214:215], v[150:151], v[232:235]// 00000000AC2C: D3D700E8 0FA32DD6
	v_mfma_i32_16x16x32_i8 v[232:235], a[216:217], v[152:153], v[232:235]// 00000000AC34: D3D700E8 0FA331D8
	buffer_load_dwordx4 a[84:87], v43, s[12:15], 0 offen offset:1024// 00000000AC3C: E05C1400 8083542B
	v_mfma_i32_16x16x32_i8 v[232:235], a[218:219], v[154:155], v[232:235]// 00000000AC44: D3D700E8 0FA335DA
	v_mfma_i32_16x16x32_i8 v[232:235], a[220:221], v[156:157], v[232:235]// 00000000AC4C: D3D700E8 0FA339DC
	v_mfma_i32_16x16x32_i8 v[232:235], a[222:223], v[158:159], v[232:235]// 00000000AC54: D3D700E8 0FA33DDE
	v_mfma_i32_16x16x32_i8 v[236:239], a[208:209], v[176:177], v[236:239]// 00000000AC5C: D3D700EC 0FB361D0
	buffer_load_dwordx4 a[88:91], v43, s[12:15], 0 offen offset:2048// 00000000AC64: E05C1800 8083582B
	v_mfma_i32_16x16x32_i8 v[236:239], a[210:211], v[178:179], v[236:239]// 00000000AC6C: D3D700EC 0FB365D2
	v_mfma_i32_16x16x32_i8 v[236:239], a[212:213], v[180:181], v[236:239]// 00000000AC74: D3D700EC 0FB369D4
	v_mfma_i32_16x16x32_i8 v[236:239], a[214:215], v[182:183], v[236:239]// 00000000AC7C: D3D700EC 0FB36DD6
	v_mfma_i32_16x16x32_i8 v[236:239], a[216:217], v[184:185], v[236:239]// 00000000AC84: D3D700EC 0FB371D8
	buffer_load_dwordx4 a[92:95], v43, s[12:15], 0 offen offset:3072// 00000000AC8C: E05C1C00 80835C2B
	v_mfma_i32_16x16x32_i8 v[236:239], a[218:219], v[186:187], v[236:239]// 00000000AC94: D3D700EC 0FB375DA
	v_mfma_i32_16x16x32_i8 v[236:239], a[220:221], v[188:189], v[236:239]// 00000000AC9C: D3D700EC 0FB379DC
	v_mfma_i32_16x16x32_i8 v[236:239], a[222:223], v[190:191], v[236:239]// 00000000ACA4: D3D700EC 0FB37DDE
	s_waitcnt vmcnt(24)                                        // 00000000ACAC: BF8C4F78
	v_mfma_i32_16x16x32_i8 v[240:243], a[224:225], v[144:145], v[240:243]// 00000000ACB0: D3D700F0 0FC321E0
	buffer_load_dwordx4 a[96:99], v44, s[12:15], 0 offen       // 00000000ACB8: E05C1000 8083602C
	v_mfma_i32_16x16x32_i8 v[240:243], a[226:227], v[146:147], v[240:243]// 00000000ACC0: D3D700F0 0FC325E2
	v_mfma_i32_16x16x32_i8 v[240:243], a[228:229], v[148:149], v[240:243]// 00000000ACC8: D3D700F0 0FC329E4
	buffer_load_dword v12, v5, s[16:19], 0 offen               // 00000000ACD0: E0501000 80040C05
	v_mfma_i32_16x16x32_i8 v[240:243], a[230:231], v[150:151], v[240:243]// 00000000ACD8: D3D700F0 0FC32DE6
	v_mfma_i32_16x16x32_i8 v[240:243], a[232:233], v[152:153], v[240:243]// 00000000ACE0: D3D700F0 0FC331E8
	buffer_load_dwordx4 a[100:103], v44, s[12:15], 0 offen offset:1024// 00000000ACE8: E05C1400 8083642C
	v_mfma_i32_16x16x32_i8 v[240:243], a[234:235], v[154:155], v[240:243]// 00000000ACF0: D3D700F0 0FC335EA
	v_mfma_i32_16x16x32_i8 v[240:243], a[236:237], v[156:157], v[240:243]// 00000000ACF8: D3D700F0 0FC339EC
	v_mfma_i32_16x16x32_i8 v[240:243], a[238:239], v[158:159], v[240:243]// 00000000AD00: D3D700F0 0FC33DEE
	v_mfma_i32_16x16x32_i8 v[244:247], a[224:225], v[176:177], v[244:247]// 00000000AD08: D3D700F4 0FD361E0
	buffer_load_dwordx4 a[104:107], v44, s[12:15], 0 offen offset:2048// 00000000AD10: E05C1800 8083682C
	v_mfma_i32_16x16x32_i8 v[244:247], a[226:227], v[178:179], v[244:247]// 00000000AD18: D3D700F4 0FD365E2
	v_mfma_i32_16x16x32_i8 v[244:247], a[228:229], v[180:181], v[244:247]// 00000000AD20: D3D700F4 0FD369E4
	s_add_u32 s60, 0x200, s80                                  // 00000000AD28: 803C50FF 00000200
	s_cmp_lt_u32 s60, s81                                      // 00000000AD30: BF0A513C
	v_mfma_i32_16x16x32_i8 v[244:247], a[230:231], v[182:183], v[244:247]// 00000000AD34: D3D700F4 0FD36DE6
	s_cselect_b32 s56, s56, 0                                  // 00000000AD3C: 85388038
	s_cselect_b32 s78, s78, 0                                  // 00000000AD40: 854E804E
	s_cselect_b32 s79, s79, 0                                  // 00000000AD44: 854F804F
	v_mfma_i32_16x16x32_i8 v[244:247], a[232:233], v[184:185], v[244:247]// 00000000AD48: D3D700F4 0FD371E8
	buffer_load_dwordx4 a[108:111], v44, s[12:15], 0 offen offset:3072// 00000000AD50: E05C1C00 80836C2C
	v_mfma_i32_16x16x32_i8 v[244:247], a[234:235], v[186:187], v[244:247]// 00000000AD58: D3D700F4 0FD375EA
	v_mfma_i32_16x16x32_i8 v[244:247], a[236:237], v[188:189], v[244:247]// 00000000AD60: D3D700F4 0FD379EC
	s_add_u32 s16, s79, s16                                    // 00000000AD68: 8010104F
	s_addc_u32 s17, 0, s17                                     // 00000000AD6C: 82111180
	v_mfma_i32_16x16x32_i8 v[244:247], a[238:239], v[190:191], v[244:247]// 00000000AD70: D3D700F4 0FD37DEE
	v_mfma_i32_16x16x32_i8 v[248:251], a[240:241], v[144:145], v[248:251]// 00000000AD78: D3D700F8 0FE321F0
	buffer_load_dwordx4 a[112:115], v45, s[12:15], 0 offen     // 00000000AD80: E05C1000 8083702D
	v_mfma_i32_16x16x32_i8 v[248:251], a[242:243], v[146:147], v[248:251]// 00000000AD88: D3D700F8 0FE325F2
	v_mfma_i32_16x16x32_i8 v[248:251], a[244:245], v[148:149], v[248:251]// 00000000AD90: D3D700F8 0FE329F4
	v_mfma_i32_16x16x32_i8 v[248:251], a[246:247], v[150:151], v[248:251]// 00000000AD98: D3D700F8 0FE32DF6
	v_mfma_i32_16x16x32_i8 v[248:251], a[248:249], v[152:153], v[248:251]// 00000000ADA0: D3D700F8 0FE331F8
	buffer_load_dwordx4 a[116:119], v45, s[12:15], 0 offen offset:1024// 00000000ADA8: E05C1400 8083742D
	v_mfma_i32_16x16x32_i8 v[248:251], a[250:251], v[154:155], v[248:251]// 00000000ADB0: D3D700F8 0FE335FA
	v_mfma_i32_16x16x32_i8 v[248:251], a[252:253], v[156:157], v[248:251]// 00000000ADB8: D3D700F8 0FE339FC
	v_mfma_i32_16x16x32_i8 v[248:251], a[254:255], v[158:159], v[248:251]// 00000000ADC0: D3D700F8 0FE33DFE
	v_mfma_i32_16x16x32_i8 v[252:255], a[240:241], v[176:177], v[252:255]// 00000000ADC8: D3D700FC 0FF361F0
	buffer_load_dwordx4 a[120:123], v45, s[12:15], 0 offen offset:2048// 00000000ADD0: E05C1800 8083782D
	v_mfma_i32_16x16x32_i8 v[252:255], a[242:243], v[178:179], v[252:255]// 00000000ADD8: D3D700FC 0FF365F2
	v_mfma_i32_16x16x32_i8 v[252:255], a[244:245], v[180:181], v[252:255]// 00000000ADE0: D3D700FC 0FF369F4
	v_mfma_i32_16x16x32_i8 v[252:255], a[246:247], v[182:183], v[252:255]// 00000000ADE8: D3D700FC 0FF36DF6
	v_mfma_i32_16x16x32_i8 v[252:255], a[248:249], v[184:185], v[252:255]// 00000000ADF0: D3D700FC 0FF371F8
	buffer_load_dwordx4 a[124:127], v45, s[12:15], 0 offen offset:3072// 00000000ADF8: E05C1C00 80837C2D
	v_mfma_i32_16x16x32_i8 v[252:255], a[250:251], v[186:187], v[252:255]// 00000000AE00: D3D700FC 0FF375FA
	v_mfma_i32_16x16x32_i8 v[252:255], a[252:253], v[188:189], v[252:255]// 00000000AE08: D3D700FC 0FF379FC
	s_add_u32 s12, s56, s12                                    // 00000000AE10: 800C0C38
	s_addc_u32 s13, 0, s13                                     // 00000000AE14: 820D0D80
	v_mfma_i32_16x16x32_i8 v[252:255], a[254:255], v[190:191], v[252:255]// 00000000AE18: D3D700FC 0FF37DFE
	v_mov_b32_e32 v96, v24                                     // 00000000AE20: 7EC00318
	v_mov_b32_e32 v100, v20                                    // 00000000AE24: 7EC80314
	v_mov_b32_e32 v97, v24                                     // 00000000AE28: 7EC20318
	v_mov_b32_e32 v101, v20                                    // 00000000AE2C: 7ECA0314
	v_mov_b32_e32 v98, v25                                     // 00000000AE30: 7EC40319
	v_mov_b32_e32 v102, v21                                    // 00000000AE34: 7ECC0315
	v_mov_b32_e32 v99, v25                                     // 00000000AE38: 7EC60319
	v_mov_b32_e32 v103, v21                                    // 00000000AE3C: 7ECE0315
	v_cvt_f32_i32_e32 v224, v224                               // 00000000AE40: 7FC00BE0
	v_cvt_f32_i32_e32 v225, v225                               // 00000000AE44: 7FC20BE1
	v_cvt_f32_i32_e32 v226, v226                               // 00000000AE48: 7FC40BE2
	v_cvt_f32_i32_e32 v227, v227                               // 00000000AE4C: 7FC60BE3
	v_pk_mul_f32 v[224:225], v[96:97], v[224:225]              // 00000000AE50: D3B140E0 1803C160
	v_pk_mul_f32 v[226:227], v[96:97], v[226:227]              // 00000000AE58: D3B140E2 1803C560
	v_mul_f32_dpp v224, v13, v224 row_newbcast:0 row_mask:0xf bank_mask:0xf// 00000000AE60: 0BC1C0FA FF01500D
	v_mul_f32_dpp v225, v13, v225 row_newbcast:1 row_mask:0xf bank_mask:0xf// 00000000AE68: 0BC3C2FA FF01510D
	v_mul_f32_dpp v226, v13, v226 row_newbcast:2 row_mask:0xf bank_mask:0xf// 00000000AE70: 0BC5C4FA FF01520D
	v_mul_f32_dpp v227, v13, v227 row_newbcast:3 row_mask:0xf bank_mask:0xf// 00000000AE78: 0BC7C6FA FF01530D
	v_pk_mul_f32 v[224:225], v[100:101], v[224:225]            // 00000000AE80: D3B140E0 1803C164
	v_pk_mul_f32 v[226:227], v[100:101], v[226:227]            // 00000000AE88: D3B140E2 1803C564
	v_cvt_f32_i32_e32 v228, v228                               // 00000000AE90: 7FC80BE4
	v_cvt_f32_i32_e32 v229, v229                               // 00000000AE94: 7FCA0BE5
	v_cvt_f32_i32_e32 v230, v230                               // 00000000AE98: 7FCC0BE6
	v_cvt_f32_i32_e32 v231, v231                               // 00000000AE9C: 7FCE0BE7
	v_pk_mul_f32 v[228:229], v[98:99], v[228:229]              // 00000000AEA0: D3B140E4 1803C962
	v_pk_mul_f32 v[230:231], v[98:99], v[230:231]              // 00000000AEA8: D3B140E6 1803CD62
	v_mul_f32_dpp v228, v13, v228 row_newbcast:0 row_mask:0xf bank_mask:0xf// 00000000AEB0: 0BC9C8FA FF01500D
	v_mul_f32_dpp v229, v13, v229 row_newbcast:1 row_mask:0xf bank_mask:0xf// 00000000AEB8: 0BCBCAFA FF01510D
	v_mul_f32_dpp v230, v13, v230 row_newbcast:2 row_mask:0xf bank_mask:0xf// 00000000AEC0: 0BCDCCFA FF01520D
	v_mul_f32_dpp v231, v13, v231 row_newbcast:3 row_mask:0xf bank_mask:0xf// 00000000AEC8: 0BCFCEFA FF01530D
	v_pk_mul_f32 v[228:229], v[102:103], v[228:229]            // 00000000AED0: D3B140E4 1803C966
	v_pk_mul_f32 v[230:231], v[102:103], v[230:231]            // 00000000AED8: D3B140E6 1803CD66
	v_cvt_f32_i32_e32 v232, v232                               // 00000000AEE0: 7FD00BE8
	v_cvt_f32_i32_e32 v233, v233                               // 00000000AEE4: 7FD20BE9
	v_cvt_f32_i32_e32 v234, v234                               // 00000000AEE8: 7FD40BEA
	v_cvt_f32_i32_e32 v235, v235                               // 00000000AEEC: 7FD60BEB
	v_pk_mul_f32 v[232:233], v[96:97], v[232:233]              // 00000000AEF0: D3B140E8 1803D160
	v_pk_mul_f32 v[234:235], v[96:97], v[234:235]              // 00000000AEF8: D3B140EA 1803D560
	v_mul_f32_dpp v232, v13, v232 row_newbcast:4 row_mask:0xf bank_mask:0xf// 00000000AF00: 0BD1D0FA FF01540D
	v_mul_f32_dpp v233, v13, v233 row_newbcast:5 row_mask:0xf bank_mask:0xf// 00000000AF08: 0BD3D2FA FF01550D
	v_mul_f32_dpp v234, v13, v234 row_newbcast:6 row_mask:0xf bank_mask:0xf// 00000000AF10: 0BD5D4FA FF01560D
	v_mul_f32_dpp v235, v13, v235 row_newbcast:7 row_mask:0xf bank_mask:0xf// 00000000AF18: 0BD7D6FA FF01570D
	v_pk_mul_f32 v[232:233], v[100:101], v[232:233]            // 00000000AF20: D3B140E8 1803D164
	v_pk_mul_f32 v[234:235], v[100:101], v[234:235]            // 00000000AF28: D3B140EA 1803D564
	v_cvt_f32_i32_e32 v236, v236                               // 00000000AF30: 7FD80BEC
	v_cvt_f32_i32_e32 v237, v237                               // 00000000AF34: 7FDA0BED
	v_cvt_f32_i32_e32 v238, v238                               // 00000000AF38: 7FDC0BEE
	v_cvt_f32_i32_e32 v239, v239                               // 00000000AF3C: 7FDE0BEF
	v_pk_mul_f32 v[236:237], v[98:99], v[236:237]              // 00000000AF40: D3B140EC 1803D962
	v_pk_mul_f32 v[238:239], v[98:99], v[238:239]              // 00000000AF48: D3B140EE 1803DD62
	v_mul_f32_dpp v236, v13, v236 row_newbcast:4 row_mask:0xf bank_mask:0xf// 00000000AF50: 0BD9D8FA FF01540D
	v_mul_f32_dpp v237, v13, v237 row_newbcast:5 row_mask:0xf bank_mask:0xf// 00000000AF58: 0BDBDAFA FF01550D
	v_mul_f32_dpp v238, v13, v238 row_newbcast:6 row_mask:0xf bank_mask:0xf// 00000000AF60: 0BDDDCFA FF01560D
	v_mul_f32_dpp v239, v13, v239 row_newbcast:7 row_mask:0xf bank_mask:0xf// 00000000AF68: 0BDFDEFA FF01570D
	v_pk_mul_f32 v[236:237], v[102:103], v[236:237]            // 00000000AF70: D3B140EC 1803D966
	v_pk_mul_f32 v[238:239], v[102:103], v[238:239]            // 00000000AF78: D3B140EE 1803DD66
	v_cvt_f32_i32_e32 v240, v240                               // 00000000AF80: 7FE00BF0
	v_cvt_f32_i32_e32 v241, v241                               // 00000000AF84: 7FE20BF1
	v_cvt_f32_i32_e32 v242, v242                               // 00000000AF88: 7FE40BF2
	v_cvt_f32_i32_e32 v243, v243                               // 00000000AF8C: 7FE60BF3
	v_pk_mul_f32 v[240:241], v[96:97], v[240:241]              // 00000000AF90: D3B140F0 1803E160
	v_pk_mul_f32 v[242:243], v[96:97], v[242:243]              // 00000000AF98: D3B140F2 1803E560
	v_mul_f32_dpp v240, v13, v240 row_newbcast:8 row_mask:0xf bank_mask:0xf// 00000000AFA0: 0BE1E0FA FF01580D
	v_mul_f32_dpp v241, v13, v241 row_newbcast:9 row_mask:0xf bank_mask:0xf// 00000000AFA8: 0BE3E2FA FF01590D
	v_mul_f32_dpp v242, v13, v242 row_newbcast:10 row_mask:0xf bank_mask:0xf// 00000000AFB0: 0BE5E4FA FF015A0D
	v_mul_f32_dpp v243, v13, v243 row_newbcast:11 row_mask:0xf bank_mask:0xf// 00000000AFB8: 0BE7E6FA FF015B0D
	v_pk_mul_f32 v[240:241], v[100:101], v[240:241]            // 00000000AFC0: D3B140F0 1803E164
	v_pk_mul_f32 v[242:243], v[100:101], v[242:243]            // 00000000AFC8: D3B140F2 1803E564
	v_cvt_f32_i32_e32 v244, v244                               // 00000000AFD0: 7FE80BF4
	v_cvt_f32_i32_e32 v245, v245                               // 00000000AFD4: 7FEA0BF5
	v_cvt_f32_i32_e32 v246, v246                               // 00000000AFD8: 7FEC0BF6
	v_cvt_f32_i32_e32 v247, v247                               // 00000000AFDC: 7FEE0BF7
	v_pk_mul_f32 v[244:245], v[98:99], v[244:245]              // 00000000AFE0: D3B140F4 1803E962
	v_pk_mul_f32 v[246:247], v[98:99], v[246:247]              // 00000000AFE8: D3B140F6 1803ED62
	v_mul_f32_dpp v244, v13, v244 row_newbcast:8 row_mask:0xf bank_mask:0xf// 00000000AFF0: 0BE9E8FA FF01580D
	v_mul_f32_dpp v245, v13, v245 row_newbcast:9 row_mask:0xf bank_mask:0xf// 00000000AFF8: 0BEBEAFA FF01590D
	v_mul_f32_dpp v246, v13, v246 row_newbcast:10 row_mask:0xf bank_mask:0xf// 00000000B000: 0BEDECFA FF015A0D
	v_mul_f32_dpp v247, v13, v247 row_newbcast:11 row_mask:0xf bank_mask:0xf// 00000000B008: 0BEFEEFA FF015B0D
	v_pk_mul_f32 v[244:245], v[102:103], v[244:245]            // 00000000B010: D3B140F4 1803E966
	v_pk_mul_f32 v[246:247], v[102:103], v[246:247]            // 00000000B018: D3B140F6 1803ED66
	v_cvt_f32_i32_e32 v248, v248                               // 00000000B020: 7FF00BF8
	v_cvt_f32_i32_e32 v249, v249                               // 00000000B024: 7FF20BF9
	v_cvt_f32_i32_e32 v250, v250                               // 00000000B028: 7FF40BFA
	v_cvt_f32_i32_e32 v251, v251                               // 00000000B02C: 7FF60BFB
	v_pk_mul_f32 v[248:249], v[96:97], v[248:249]              // 00000000B030: D3B140F8 1803F160
	v_pk_mul_f32 v[250:251], v[96:97], v[250:251]              // 00000000B038: D3B140FA 1803F560
	v_mul_f32_dpp v248, v13, v248 row_newbcast:12 row_mask:0xf bank_mask:0xf// 00000000B040: 0BF1F0FA FF015C0D
	v_mul_f32_dpp v249, v13, v249 row_newbcast:13 row_mask:0xf bank_mask:0xf// 00000000B048: 0BF3F2FA FF015D0D
	v_mul_f32_dpp v250, v13, v250 row_newbcast:14 row_mask:0xf bank_mask:0xf// 00000000B050: 0BF5F4FA FF015E0D
	v_mul_f32_dpp v251, v13, v251 row_newbcast:15 row_mask:0xf bank_mask:0xf// 00000000B058: 0BF7F6FA FF015F0D
	v_pk_mul_f32 v[248:249], v[100:101], v[248:249]            // 00000000B060: D3B140F8 1803F164
	v_pk_mul_f32 v[250:251], v[100:101], v[250:251]            // 00000000B068: D3B140FA 1803F564
	v_cvt_f32_i32_e32 v252, v252                               // 00000000B070: 7FF80BFC
	v_cvt_f32_i32_e32 v253, v253                               // 00000000B074: 7FFA0BFD
	v_cvt_f32_i32_e32 v254, v254                               // 00000000B078: 7FFC0BFE
	v_cvt_f32_i32_e32 v255, v255                               // 00000000B07C: 7FFE0BFF
	v_pk_mul_f32 v[252:253], v[98:99], v[252:253]              // 00000000B080: D3B140FC 1803F962
	v_pk_mul_f32 v[254:255], v[98:99], v[254:255]              // 00000000B088: D3B140FE 1803FD62
	v_mul_f32_dpp v252, v13, v252 row_newbcast:12 row_mask:0xf bank_mask:0xf// 00000000B090: 0BF9F8FA FF015C0D
	v_mul_f32_dpp v253, v13, v253 row_newbcast:13 row_mask:0xf bank_mask:0xf// 00000000B098: 0BFBFAFA FF015D0D
	v_mul_f32_dpp v254, v13, v254 row_newbcast:14 row_mask:0xf bank_mask:0xf// 00000000B0A0: 0BFDFCFA FF015E0D
	v_mul_f32_dpp v255, v13, v255 row_newbcast:15 row_mask:0xf bank_mask:0xf// 00000000B0A8: 0BFFFEFA FF015F0D
	v_pk_mul_f32 v[252:253], v[102:103], v[252:253]            // 00000000B0B0: D3B140FC 1803F966
	v_pk_mul_f32 v[254:255], v[102:103], v[254:255]            // 00000000B0B8: D3B140FE 1803FD66
	v_cmp_u_f32_e64 s[48:49], v224, v224                       // 00000000B0C0: D0480030 0003C1E0
	v_add3_u32 v50, v224, v53, 1                               // 00000000B0C8: D1FF0032 02066BE0
	v_cndmask_b32_e64 v54, v50, v52, s[48:49]                  // 00000000B0D0: D1000036 00C26932
	v_cmp_u_f32_e64 s[48:49], v225, v225                       // 00000000B0D8: D0480030 0003C3E1
	v_add3_u32 v50, v225, v53, 1                               // 00000000B0E0: D1FF0032 02066BE1
	v_cndmask_b32_e64 v55, v50, v52, s[48:49]                  // 00000000B0E8: D1000037 00C26932
	v_perm_b32 v224, v55, v54, s52                             // 00000000B0F0: D1ED00E0 00D26D37
	v_cmp_u_f32_e64 s[48:49], v226, v226                       // 00000000B0F8: D0480030 0003C5E2
	v_add3_u32 v50, v226, v53, 1                               // 00000000B100: D1FF0032 02066BE2
	v_cndmask_b32_e64 v54, v50, v52, s[48:49]                  // 00000000B108: D1000036 00C26932
	v_cmp_u_f32_e64 s[48:49], v227, v227                       // 00000000B110: D0480030 0003C7E3
	v_add3_u32 v50, v227, v53, 1                               // 00000000B118: D1FF0032 02066BE3
	v_cndmask_b32_e64 v55, v50, v52, s[48:49]                  // 00000000B120: D1000037 00C26932
	v_perm_b32 v225, v55, v54, s52                             // 00000000B128: D1ED00E1 00D26D37
	v_cmp_u_f32_e64 s[48:49], v228, v228                       // 00000000B130: D0480030 0003C9E4
	v_add3_u32 v50, v228, v53, 1                               // 00000000B138: D1FF0032 02066BE4
	v_cndmask_b32_e64 v54, v50, v52, s[48:49]                  // 00000000B140: D1000036 00C26932
	v_cmp_u_f32_e64 s[48:49], v229, v229                       // 00000000B148: D0480030 0003CBE5
	v_add3_u32 v50, v229, v53, 1                               // 00000000B150: D1FF0032 02066BE5
	v_cndmask_b32_e64 v55, v50, v52, s[48:49]                  // 00000000B158: D1000037 00C26932
	v_perm_b32 v226, v55, v54, s52                             // 00000000B160: D1ED00E2 00D26D37
	v_cmp_u_f32_e64 s[48:49], v230, v230                       // 00000000B168: D0480030 0003CDE6
	v_add3_u32 v50, v230, v53, 1                               // 00000000B170: D1FF0032 02066BE6
	v_cndmask_b32_e64 v54, v50, v52, s[48:49]                  // 00000000B178: D1000036 00C26932
	v_cmp_u_f32_e64 s[48:49], v231, v231                       // 00000000B180: D0480030 0003CFE7
	v_add3_u32 v50, v231, v53, 1                               // 00000000B188: D1FF0032 02066BE7
	v_cndmask_b32_e64 v55, v50, v52, s[48:49]                  // 00000000B190: D1000037 00C26932
	v_perm_b32 v227, v55, v54, s52                             // 00000000B198: D1ED00E3 00D26D37
	v_cmp_u_f32_e64 s[48:49], v232, v232                       // 00000000B1A0: D0480030 0003D1E8
	v_add3_u32 v50, v232, v53, 1                               // 00000000B1A8: D1FF0032 02066BE8
	v_cndmask_b32_e64 v54, v50, v52, s[48:49]                  // 00000000B1B0: D1000036 00C26932
	v_cmp_u_f32_e64 s[48:49], v233, v233                       // 00000000B1B8: D0480030 0003D3E9
	v_add3_u32 v50, v233, v53, 1                               // 00000000B1C0: D1FF0032 02066BE9
	v_cndmask_b32_e64 v55, v50, v52, s[48:49]                  // 00000000B1C8: D1000037 00C26932
	v_perm_b32 v228, v55, v54, s52                             // 00000000B1D0: D1ED00E4 00D26D37
	v_cmp_u_f32_e64 s[48:49], v234, v234                       // 00000000B1D8: D0480030 0003D5EA
	v_add3_u32 v50, v234, v53, 1                               // 00000000B1E0: D1FF0032 02066BEA
	v_cndmask_b32_e64 v54, v50, v52, s[48:49]                  // 00000000B1E8: D1000036 00C26932
	v_cmp_u_f32_e64 s[48:49], v235, v235                       // 00000000B1F0: D0480030 0003D7EB
	v_add3_u32 v50, v235, v53, 1                               // 00000000B1F8: D1FF0032 02066BEB
	v_cndmask_b32_e64 v55, v50, v52, s[48:49]                  // 00000000B200: D1000037 00C26932
	v_perm_b32 v229, v55, v54, s52                             // 00000000B208: D1ED00E5 00D26D37
	v_cmp_u_f32_e64 s[48:49], v236, v236                       // 00000000B210: D0480030 0003D9EC
	v_add3_u32 v50, v236, v53, 1                               // 00000000B218: D1FF0032 02066BEC
	v_cndmask_b32_e64 v54, v50, v52, s[48:49]                  // 00000000B220: D1000036 00C26932
	v_cmp_u_f32_e64 s[48:49], v237, v237                       // 00000000B228: D0480030 0003DBED
	v_add3_u32 v50, v237, v53, 1                               // 00000000B230: D1FF0032 02066BED
	v_cndmask_b32_e64 v55, v50, v52, s[48:49]                  // 00000000B238: D1000037 00C26932
	v_perm_b32 v230, v55, v54, s52                             // 00000000B240: D1ED00E6 00D26D37
	v_cmp_u_f32_e64 s[48:49], v238, v238                       // 00000000B248: D0480030 0003DDEE
	v_add3_u32 v50, v238, v53, 1                               // 00000000B250: D1FF0032 02066BEE
	v_cndmask_b32_e64 v54, v50, v52, s[48:49]                  // 00000000B258: D1000036 00C26932
	v_cmp_u_f32_e64 s[48:49], v239, v239                       // 00000000B260: D0480030 0003DFEF
	v_add3_u32 v50, v239, v53, 1                               // 00000000B268: D1FF0032 02066BEF
	v_cndmask_b32_e64 v55, v50, v52, s[48:49]                  // 00000000B270: D1000037 00C26932
	v_perm_b32 v231, v55, v54, s52                             // 00000000B278: D1ED00E7 00D26D37
	v_cmp_u_f32_e64 s[48:49], v240, v240                       // 00000000B280: D0480030 0003E1F0
	v_add3_u32 v50, v240, v53, 1                               // 00000000B288: D1FF0032 02066BF0
	v_cndmask_b32_e64 v54, v50, v52, s[48:49]                  // 00000000B290: D1000036 00C26932
	v_cmp_u_f32_e64 s[48:49], v241, v241                       // 00000000B298: D0480030 0003E3F1
	v_add3_u32 v50, v241, v53, 1                               // 00000000B2A0: D1FF0032 02066BF1
	v_cndmask_b32_e64 v55, v50, v52, s[48:49]                  // 00000000B2A8: D1000037 00C26932
	v_perm_b32 v232, v55, v54, s52                             // 00000000B2B0: D1ED00E8 00D26D37
	v_cmp_u_f32_e64 s[48:49], v242, v242                       // 00000000B2B8: D0480030 0003E5F2
	v_add3_u32 v50, v242, v53, 1                               // 00000000B2C0: D1FF0032 02066BF2
	v_cndmask_b32_e64 v54, v50, v52, s[48:49]                  // 00000000B2C8: D1000036 00C26932
	v_cmp_u_f32_e64 s[48:49], v243, v243                       // 00000000B2D0: D0480030 0003E7F3
	v_add3_u32 v50, v243, v53, 1                               // 00000000B2D8: D1FF0032 02066BF3
	v_cndmask_b32_e64 v55, v50, v52, s[48:49]                  // 00000000B2E0: D1000037 00C26932
	v_perm_b32 v233, v55, v54, s52                             // 00000000B2E8: D1ED00E9 00D26D37
	v_cmp_u_f32_e64 s[48:49], v244, v244                       // 00000000B2F0: D0480030 0003E9F4
	v_add3_u32 v50, v244, v53, 1                               // 00000000B2F8: D1FF0032 02066BF4
	v_cndmask_b32_e64 v54, v50, v52, s[48:49]                  // 00000000B300: D1000036 00C26932
	v_cmp_u_f32_e64 s[48:49], v245, v245                       // 00000000B308: D0480030 0003EBF5
	v_add3_u32 v50, v245, v53, 1                               // 00000000B310: D1FF0032 02066BF5
	v_cndmask_b32_e64 v55, v50, v52, s[48:49]                  // 00000000B318: D1000037 00C26932
	v_perm_b32 v234, v55, v54, s52                             // 00000000B320: D1ED00EA 00D26D37
	v_cmp_u_f32_e64 s[48:49], v246, v246                       // 00000000B328: D0480030 0003EDF6
	v_add3_u32 v50, v246, v53, 1                               // 00000000B330: D1FF0032 02066BF6
	v_cndmask_b32_e64 v54, v50, v52, s[48:49]                  // 00000000B338: D1000036 00C26932
	v_cmp_u_f32_e64 s[48:49], v247, v247                       // 00000000B340: D0480030 0003EFF7
	v_add3_u32 v50, v247, v53, 1                               // 00000000B348: D1FF0032 02066BF7
	v_cndmask_b32_e64 v55, v50, v52, s[48:49]                  // 00000000B350: D1000037 00C26932
	v_perm_b32 v235, v55, v54, s52                             // 00000000B358: D1ED00EB 00D26D37
	v_cmp_u_f32_e64 s[48:49], v248, v248                       // 00000000B360: D0480030 0003F1F8
	v_add3_u32 v50, v248, v53, 1                               // 00000000B368: D1FF0032 02066BF8
	v_cndmask_b32_e64 v54, v50, v52, s[48:49]                  // 00000000B370: D1000036 00C26932
	v_cmp_u_f32_e64 s[48:49], v249, v249                       // 00000000B378: D0480030 0003F3F9
	v_add3_u32 v50, v249, v53, 1                               // 00000000B380: D1FF0032 02066BF9
	v_cndmask_b32_e64 v55, v50, v52, s[48:49]                  // 00000000B388: D1000037 00C26932
	v_perm_b32 v236, v55, v54, s52                             // 00000000B390: D1ED00EC 00D26D37
	v_cmp_u_f32_e64 s[48:49], v250, v250                       // 00000000B398: D0480030 0003F5FA
	v_add3_u32 v50, v250, v53, 1                               // 00000000B3A0: D1FF0032 02066BFA
	v_cndmask_b32_e64 v54, v50, v52, s[48:49]                  // 00000000B3A8: D1000036 00C26932
	v_cmp_u_f32_e64 s[48:49], v251, v251                       // 00000000B3B0: D0480030 0003F7FB
	v_add3_u32 v50, v251, v53, 1                               // 00000000B3B8: D1FF0032 02066BFB
	v_cndmask_b32_e64 v55, v50, v52, s[48:49]                  // 00000000B3C0: D1000037 00C26932
	v_perm_b32 v237, v55, v54, s52                             // 00000000B3C8: D1ED00ED 00D26D37
	v_cmp_u_f32_e64 s[48:49], v252, v252                       // 00000000B3D0: D0480030 0003F9FC
	v_add3_u32 v50, v252, v53, 1                               // 00000000B3D8: D1FF0032 02066BFC
	v_cndmask_b32_e64 v54, v50, v52, s[48:49]                  // 00000000B3E0: D1000036 00C26932
	v_cmp_u_f32_e64 s[48:49], v253, v253                       // 00000000B3E8: D0480030 0003FBFD
	v_add3_u32 v50, v253, v53, 1                               // 00000000B3F0: D1FF0032 02066BFD
	v_cndmask_b32_e64 v55, v50, v52, s[48:49]                  // 00000000B3F8: D1000037 00C26932
	v_perm_b32 v238, v55, v54, s52                             // 00000000B400: D1ED00EE 00D26D37
	v_cmp_u_f32_e64 s[48:49], v254, v254                       // 00000000B408: D0480030 0003FDFE
	v_add3_u32 v50, v254, v53, 1                               // 00000000B410: D1FF0032 02066BFE
	v_cndmask_b32_e64 v54, v50, v52, s[48:49]                  // 00000000B418: D1000036 00C26932
	v_cmp_u_f32_e64 s[48:49], v255, v255                       // 00000000B420: D0480030 0003FFFF
	v_add3_u32 v50, v255, v53, 1                               // 00000000B428: D1FF0032 02066BFF
	v_cndmask_b32_e64 v55, v50, v52, s[48:49]                  // 00000000B430: D1000037 00C26932
	v_perm_b32 v239, v55, v54, s52                             // 00000000B438: D1ED00EF 00D26D37
	s_setvskip s20, 0                                          // 00000000B440: BF108014
	global_atomic_pk_add_bf16 v80, v64, s[8:9]                 // 00000000B444: DD488000 00084050
	s_setvskip 0, 0                                            // 00000000B44C: BF108080
	s_setvskip s20, 0                                          // 00000000B450: BF108014
	global_atomic_pk_add_bf16 v80, v65, s[8:9] offset:256      // 00000000B454: DD488100 00084150
	s_setvskip 0, 0                                            // 00000000B45C: BF108080
	s_setvskip s20, 1                                          // 00000000B460: BF108114
	global_atomic_pk_add_bf16 v82, v66, s[8:9]                 // 00000000B464: DD488000 00084252
	s_setvskip 0, 0                                            // 00000000B46C: BF108080
	s_setvskip s20, 1                                          // 00000000B470: BF108114
	global_atomic_pk_add_bf16 v82, v67, s[8:9] offset:256      // 00000000B474: DD488100 00084352
	s_setvskip 0, 0                                            // 00000000B47C: BF108080
	s_setvskip s20, 2                                          // 00000000B480: BF108214
	global_atomic_pk_add_bf16 v84, v68, s[8:9]                 // 00000000B484: DD488000 00084454
	s_setvskip 0, 0                                            // 00000000B48C: BF108080
	s_setvskip s20, 2                                          // 00000000B490: BF108214
	global_atomic_pk_add_bf16 v84, v69, s[8:9] offset:256      // 00000000B494: DD488100 00084554
	s_setvskip 0, 0                                            // 00000000B49C: BF108080
	s_setvskip s20, 3                                          // 00000000B4A0: BF108314
	global_atomic_pk_add_bf16 v86, v70, s[8:9]                 // 00000000B4A4: DD488000 00084656
	s_setvskip 0, 0                                            // 00000000B4AC: BF108080
	s_setvskip s20, 3                                          // 00000000B4B0: BF108314
	global_atomic_pk_add_bf16 v86, v71, s[8:9] offset:256      // 00000000B4B4: DD488100 00084756
	s_setvskip 0, 0                                            // 00000000B4BC: BF108080
	s_setvskip s20, 4                                          // 00000000B4C0: BF108414
	global_atomic_pk_add_bf16 v88, v72, s[8:9]                 // 00000000B4C4: DD488000 00084858
	s_setvskip 0, 0                                            // 00000000B4CC: BF108080
	s_setvskip s20, 4                                          // 00000000B4D0: BF108414
	global_atomic_pk_add_bf16 v88, v73, s[8:9] offset:256      // 00000000B4D4: DD488100 00084958
	s_setvskip 0, 0                                            // 00000000B4DC: BF108080
	s_setvskip s20, 5                                          // 00000000B4E0: BF108514
	global_atomic_pk_add_bf16 v90, v74, s[8:9]                 // 00000000B4E4: DD488000 00084A5A
	s_setvskip 0, 0                                            // 00000000B4EC: BF108080
	s_setvskip s20, 5                                          // 00000000B4F0: BF108514
	global_atomic_pk_add_bf16 v90, v75, s[8:9] offset:256      // 00000000B4F4: DD488100 00084B5A
	s_setvskip 0, 0                                            // 00000000B4FC: BF108080
	s_setvskip s20, 6                                          // 00000000B500: BF108614
	global_atomic_pk_add_bf16 v92, v76, s[8:9]                 // 00000000B504: DD488000 00084C5C
	s_setvskip 0, 0                                            // 00000000B50C: BF108080
	s_setvskip s20, 6                                          // 00000000B510: BF108614
	global_atomic_pk_add_bf16 v92, v77, s[8:9] offset:256      // 00000000B514: DD488100 00084D5C
	s_setvskip 0, 0                                            // 00000000B51C: BF108080
	s_setvskip s20, 7                                          // 00000000B520: BF108714
	global_atomic_pk_add_bf16 v94, v78, s[8:9]                 // 00000000B524: DD488000 00084E5E
	s_setvskip 0, 0                                            // 00000000B52C: BF108080
	s_setvskip s20, 7                                          // 00000000B530: BF108714
	global_atomic_pk_add_bf16 v94, v79, s[8:9] offset:256      // 00000000B534: DD488100 00084F5E
	s_setvskip 0, 0                                            // 00000000B53C: BF108080
	s_cmp_ge_u32 s80, 0x200                                    // 00000000B540: BF09FF50 00000200
	s_cselect_b32 s59, 0x200, s59                              // 00000000B548: 853B3BFF 00000200
	s_add_u32 s8, s59, s8                                      // 00000000B550: 8008083B
	s_addc_u32 s9, 0, s9                                       // 00000000B554: 82090980
	s_addk_i32 s80, 0x100                                      // 00000000B558: B7500100
	s_cmp_lt_i32 s80, s81                                      // 00000000B55C: BF045150
	s_cbranch_scc0 label_12A2                                  // 00000000B560: BF84F009
	s_branch label_1BF1                                        // 00000000B564: BF82F957

000000000000b568 <label_229A>:
	s_waitcnt lgkmcnt(0)                                       // 00000000B568: BF8CC07F
	s_barrier                                                  // 00000000B56C: BF8A0000
	ds_read_b32 v64, v4 offset:18688                           // 00000000B570: D86C4900 40000004
	ds_read_b32 v65, v4 offset:23040                           // 00000000B578: D86C5A00 41000004
	ds_read_b32 v66, v4 offset:18720                           // 00000000B580: D86C4920 42000004
	ds_read_b32 v67, v4 offset:23072                           // 00000000B588: D86C5A20 43000004
	ds_read_b32 v68, v4 offset:18752                           // 00000000B590: D86C4940 44000004
	ds_read_b32 v69, v4 offset:23104                           // 00000000B598: D86C5A40 45000004
	ds_read_b32 v70, v4 offset:18784                           // 00000000B5A0: D86C4960 46000004
	ds_read_b32 v71, v4 offset:23136                           // 00000000B5A8: D86C5A60 47000004
	ds_read_b32 v72, v4 offset:27392                           // 00000000B5B0: D86C6B00 48000004
	ds_read_b32 v73, v4 offset:31744                           // 00000000B5B8: D86C7C00 49000004
	ds_read_b32 v74, v4 offset:27424                           // 00000000B5C0: D86C6B20 4A000004
	ds_read_b32 v75, v4 offset:31776                           // 00000000B5C8: D86C7C20 4B000004
	ds_read_b32 v76, v4 offset:27456                           // 00000000B5D0: D86C6B40 4C000004
	ds_read_b32 v77, v4 offset:31808                           // 00000000B5D8: D86C7C40 4D000004
	ds_read_b32 v78, v4 offset:27488                           // 00000000B5E0: D86C6B60 4E000004
	ds_read_b32 v79, v4 offset:31840                           // 00000000B5E8: D86C7C60 4F000004
	s_waitcnt lgkmcnt(0)                                       // 00000000B5F0: BF8CC07F
	s_setvskip s20, 0                                          // 00000000B5F4: BF108014
	global_atomic_pk_add_bf16 v80, v64, s[8:9]                 // 00000000B5F8: DD488000 00084050
	s_setvskip 0, 0                                            // 00000000B600: BF108080
	s_setvskip s20, 0                                          // 00000000B604: BF108014
	global_atomic_pk_add_bf16 v80, v65, s[8:9] offset:256      // 00000000B608: DD488100 00084150
	s_setvskip 0, 0                                            // 00000000B610: BF108080
	s_setvskip s20, 1                                          // 00000000B614: BF108114
	global_atomic_pk_add_bf16 v82, v66, s[8:9]                 // 00000000B618: DD488000 00084252
	s_setvskip 0, 0                                            // 00000000B620: BF108080
	s_setvskip s20, 1                                          // 00000000B624: BF108114
	global_atomic_pk_add_bf16 v82, v67, s[8:9] offset:256      // 00000000B628: DD488100 00084352
	s_setvskip 0, 0                                            // 00000000B630: BF108080
	s_setvskip s20, 2                                          // 00000000B634: BF108214
	global_atomic_pk_add_bf16 v84, v68, s[8:9]                 // 00000000B638: DD488000 00084454
	s_setvskip 0, 0                                            // 00000000B640: BF108080
	s_setvskip s20, 2                                          // 00000000B644: BF108214
	global_atomic_pk_add_bf16 v84, v69, s[8:9] offset:256      // 00000000B648: DD488100 00084554
	s_setvskip 0, 0                                            // 00000000B650: BF108080
	s_setvskip s20, 3                                          // 00000000B654: BF108314
	global_atomic_pk_add_bf16 v86, v70, s[8:9]                 // 00000000B658: DD488000 00084656
	s_setvskip 0, 0                                            // 00000000B660: BF108080
	s_setvskip s20, 3                                          // 00000000B664: BF108314
	global_atomic_pk_add_bf16 v86, v71, s[8:9] offset:256      // 00000000B668: DD488100 00084756
	s_setvskip 0, 0                                            // 00000000B670: BF108080
	s_setvskip s20, 4                                          // 00000000B674: BF108414
	global_atomic_pk_add_bf16 v88, v72, s[8:9]                 // 00000000B678: DD488000 00084858
	s_setvskip 0, 0                                            // 00000000B680: BF108080
	s_setvskip s20, 4                                          // 00000000B684: BF108414
	global_atomic_pk_add_bf16 v88, v73, s[8:9] offset:256      // 00000000B688: DD488100 00084958
	s_setvskip 0, 0                                            // 00000000B690: BF108080
	s_setvskip s20, 5                                          // 00000000B694: BF108514
	global_atomic_pk_add_bf16 v90, v74, s[8:9]                 // 00000000B698: DD488000 00084A5A
	s_setvskip 0, 0                                            // 00000000B6A0: BF108080
	s_setvskip s20, 5                                          // 00000000B6A4: BF108514
	global_atomic_pk_add_bf16 v90, v75, s[8:9] offset:256      // 00000000B6A8: DD488100 00084B5A
	s_setvskip 0, 0                                            // 00000000B6B0: BF108080
	s_setvskip s20, 6                                          // 00000000B6B4: BF108614
	global_atomic_pk_add_bf16 v92, v76, s[8:9]                 // 00000000B6B8: DD488000 00084C5C
	s_setvskip 0, 0                                            // 00000000B6C0: BF108080
	s_setvskip s20, 6                                          // 00000000B6C4: BF108614
	global_atomic_pk_add_bf16 v92, v77, s[8:9] offset:256      // 00000000B6C8: DD488100 00084D5C
	s_setvskip 0, 0                                            // 00000000B6D0: BF108080
	s_setvskip s20, 7                                          // 00000000B6D4: BF108714
	global_atomic_pk_add_bf16 v94, v78, s[8:9]                 // 00000000B6D8: DD488000 00084E5E
	s_setvskip 0, 0                                            // 00000000B6E0: BF108080
	s_setvskip s20, 7                                          // 00000000B6E4: BF108714
	global_atomic_pk_add_bf16 v94, v79, s[8:9] offset:256      // 00000000B6E8: DD488100 00084F5E
	s_setvskip 0, 0                                            // 00000000B6F0: BF108080
	s_add_u32 s8, s59, s8                                      // 00000000B6F4: 8008083B
	s_addc_u32 s9, 0, s9                                       // 00000000B6F8: 82090980
	ds_write_b64 v3, v[224:225] offset:36096                   // 00000000B6FC: D89A8D00 0000E003
	ds_write_b64 v3, v[226:227] offset:44800                   // 00000000B704: D89AAF00 0000E203
	ds_write_b64 v3, v[228:229] offset:38272                   // 00000000B70C: D89A9580 0000E403
	ds_write_b64 v3, v[230:231] offset:46976                   // 00000000B714: D89AB780 0000E603
	ds_write_b64 v3, v[232:233] offset:40448                   // 00000000B71C: D89A9E00 0000E803
	ds_write_b64 v3, v[234:235] offset:49152                   // 00000000B724: D89AC000 0000EA03
	ds_write_b64 v3, v[236:237] offset:42624                   // 00000000B72C: D89AA680 0000EC03
	ds_write_b64 v3, v[238:239] offset:51328                   // 00000000B734: D89AC880 0000EE03
	s_waitcnt lgkmcnt(0)                                       // 00000000B73C: BF8CC07F
	s_barrier                                                  // 00000000B740: BF8A0000
	ds_read_b32 v64, v4 offset:36096                           // 00000000B744: D86C8D00 40000004
	ds_read_b32 v65, v4 offset:40448                           // 00000000B74C: D86C9E00 41000004
	ds_read_b32 v66, v4 offset:36128                           // 00000000B754: D86C8D20 42000004
	ds_read_b32 v67, v4 offset:40480                           // 00000000B75C: D86C9E20 43000004
	ds_read_b32 v68, v4 offset:36160                           // 00000000B764: D86C8D40 44000004
	ds_read_b32 v69, v4 offset:40512                           // 00000000B76C: D86C9E40 45000004
	ds_read_b32 v70, v4 offset:36192                           // 00000000B774: D86C8D60 46000004
	ds_read_b32 v71, v4 offset:40544                           // 00000000B77C: D86C9E60 47000004
	ds_read_b32 v72, v4 offset:44800                           // 00000000B784: D86CAF00 48000004
	ds_read_b32 v73, v4 offset:49152                           // 00000000B78C: D86CC000 49000004
	ds_read_b32 v74, v4 offset:44832                           // 00000000B794: D86CAF20 4A000004
	ds_read_b32 v75, v4 offset:49184                           // 00000000B79C: D86CC020 4B000004
	ds_read_b32 v76, v4 offset:44864                           // 00000000B7A4: D86CAF40 4C000004
	ds_read_b32 v77, v4 offset:49216                           // 00000000B7AC: D86CC040 4D000004
	ds_read_b32 v78, v4 offset:44896                           // 00000000B7B4: D86CAF60 4E000004
	ds_read_b32 v79, v4 offset:49248                           // 00000000B7BC: D86CC060 4F000004
	s_waitcnt lgkmcnt(0)                                       // 00000000B7C4: BF8CC07F
	s_setvskip s20, 0                                          // 00000000B7C8: BF108014
	global_atomic_pk_add_bf16 v80, v64, s[8:9]                 // 00000000B7CC: DD488000 00084050
	s_setvskip 0, 0                                            // 00000000B7D4: BF108080
	s_setvskip s20, 0                                          // 00000000B7D8: BF108014
	global_atomic_pk_add_bf16 v80, v65, s[8:9] offset:256      // 00000000B7DC: DD488100 00084150
	s_setvskip 0, 0                                            // 00000000B7E4: BF108080
	s_setvskip s20, 1                                          // 00000000B7E8: BF108114
	global_atomic_pk_add_bf16 v82, v66, s[8:9]                 // 00000000B7EC: DD488000 00084252
	s_setvskip 0, 0                                            // 00000000B7F4: BF108080
	s_setvskip s20, 1                                          // 00000000B7F8: BF108114
	global_atomic_pk_add_bf16 v82, v67, s[8:9] offset:256      // 00000000B7FC: DD488100 00084352
	s_setvskip 0, 0                                            // 00000000B804: BF108080
	s_setvskip s20, 2                                          // 00000000B808: BF108214
	global_atomic_pk_add_bf16 v84, v68, s[8:9]                 // 00000000B80C: DD488000 00084454
	s_setvskip 0, 0                                            // 00000000B814: BF108080
	s_setvskip s20, 2                                          // 00000000B818: BF108214
	global_atomic_pk_add_bf16 v84, v69, s[8:9] offset:256      // 00000000B81C: DD488100 00084554
	s_setvskip 0, 0                                            // 00000000B824: BF108080
	s_setvskip s20, 3                                          // 00000000B828: BF108314
	global_atomic_pk_add_bf16 v86, v70, s[8:9]                 // 00000000B82C: DD488000 00084656
	s_setvskip 0, 0                                            // 00000000B834: BF108080
	s_setvskip s20, 3                                          // 00000000B838: BF108314
	global_atomic_pk_add_bf16 v86, v71, s[8:9] offset:256      // 00000000B83C: DD488100 00084756
	s_setvskip 0, 0                                            // 00000000B844: BF108080
	s_setvskip s20, 4                                          // 00000000B848: BF108414
	global_atomic_pk_add_bf16 v88, v72, s[8:9]                 // 00000000B84C: DD488000 00084858
	s_setvskip 0, 0                                            // 00000000B854: BF108080
	s_setvskip s20, 4                                          // 00000000B858: BF108414
	global_atomic_pk_add_bf16 v88, v73, s[8:9] offset:256      // 00000000B85C: DD488100 00084958
	s_setvskip 0, 0                                            // 00000000B864: BF108080
	s_setvskip s20, 5                                          // 00000000B868: BF108514
	global_atomic_pk_add_bf16 v90, v74, s[8:9]                 // 00000000B86C: DD488000 00084A5A
	s_setvskip 0, 0                                            // 00000000B874: BF108080
	s_setvskip s20, 5                                          // 00000000B878: BF108514
	global_atomic_pk_add_bf16 v90, v75, s[8:9] offset:256      // 00000000B87C: DD488100 00084B5A
	s_setvskip 0, 0                                            // 00000000B884: BF108080
	s_setvskip s20, 6                                          // 00000000B888: BF108614
	global_atomic_pk_add_bf16 v92, v76, s[8:9]                 // 00000000B88C: DD488000 00084C5C
	s_setvskip 0, 0                                            // 00000000B894: BF108080
	s_setvskip s20, 6                                          // 00000000B898: BF108614
	global_atomic_pk_add_bf16 v92, v77, s[8:9] offset:256      // 00000000B89C: DD488100 00084D5C
	s_setvskip 0, 0                                            // 00000000B8A4: BF108080
	s_setvskip s20, 7                                          // 00000000B8A8: BF108714
	global_atomic_pk_add_bf16 v94, v78, s[8:9]                 // 00000000B8AC: DD488000 00084E5E
	s_setvskip 0, 0                                            // 00000000B8B4: BF108080
	s_setvskip s20, 7                                          // 00000000B8B8: BF108714
	global_atomic_pk_add_bf16 v94, v79, s[8:9] offset:256      // 00000000B8BC: DD488100 00084F5E
	s_setvskip 0, 0                                            // 00000000B8C4: BF108080

000000000000b8c8 <label_2372>:
	s_waitcnt vmcnt(0) expcnt(0) lgkmcnt(0)                    // 00000000B8C8: BF8C0000
	s_endpgm                                                   // 00000000B8CC: BF810000
